;; amdgpu-corpus repo=ROCm/rocFFT kind=compiled arch=gfx906 opt=O3
	.text
	.amdgcn_target "amdgcn-amd-amdhsa--gfx906"
	.amdhsa_code_object_version 6
	.protected	fft_rtc_fwd_len1352_factors_2_13_13_4_wgs_52_tpt_52_halfLds_sp_op_CI_CI_unitstride_sbrr_R2C_dirReg ; -- Begin function fft_rtc_fwd_len1352_factors_2_13_13_4_wgs_52_tpt_52_halfLds_sp_op_CI_CI_unitstride_sbrr_R2C_dirReg
	.globl	fft_rtc_fwd_len1352_factors_2_13_13_4_wgs_52_tpt_52_halfLds_sp_op_CI_CI_unitstride_sbrr_R2C_dirReg
	.p2align	8
	.type	fft_rtc_fwd_len1352_factors_2_13_13_4_wgs_52_tpt_52_halfLds_sp_op_CI_CI_unitstride_sbrr_R2C_dirReg,@function
fft_rtc_fwd_len1352_factors_2_13_13_4_wgs_52_tpt_52_halfLds_sp_op_CI_CI_unitstride_sbrr_R2C_dirReg: ; @fft_rtc_fwd_len1352_factors_2_13_13_4_wgs_52_tpt_52_halfLds_sp_op_CI_CI_unitstride_sbrr_R2C_dirReg
; %bb.0:
	s_load_dwordx4 s[8:11], s[4:5], 0x58
	s_load_dwordx4 s[12:15], s[4:5], 0x0
	;; [unrolled: 1-line block ×3, first 2 shown]
	v_mul_u32_u24_e32 v1, 0x4ed, v0
	v_add_u32_sdwa v5, s6, v1 dst_sel:DWORD dst_unused:UNUSED_PAD src0_sel:DWORD src1_sel:WORD_1
	v_mov_b32_e32 v3, 0
	s_waitcnt lgkmcnt(0)
	v_cmp_lt_u64_e64 s[0:1], s[14:15], 2
	v_mov_b32_e32 v1, 0
	v_mov_b32_e32 v6, v3
	s_and_b64 vcc, exec, s[0:1]
	v_mov_b32_e32 v2, 0
	s_cbranch_vccnz .LBB0_8
; %bb.1:
	s_load_dwordx2 s[0:1], s[4:5], 0x10
	s_add_u32 s2, s18, 8
	s_addc_u32 s3, s19, 0
	s_add_u32 s6, s16, 8
	v_mov_b32_e32 v1, 0
	s_addc_u32 s7, s17, 0
	v_mov_b32_e32 v2, 0
	s_waitcnt lgkmcnt(0)
	s_add_u32 s20, s0, 8
	v_mov_b32_e32 v37, v2
	s_addc_u32 s21, s1, 0
	s_mov_b64 s[22:23], 1
	v_mov_b32_e32 v36, v1
.LBB0_2:                                ; =>This Inner Loop Header: Depth=1
	s_load_dwordx2 s[24:25], s[20:21], 0x0
                                        ; implicit-def: $vgpr42_vgpr43
	s_waitcnt lgkmcnt(0)
	v_or_b32_e32 v4, s25, v6
	v_cmp_ne_u64_e32 vcc, 0, v[3:4]
	s_and_saveexec_b64 s[0:1], vcc
	s_xor_b64 s[26:27], exec, s[0:1]
	s_cbranch_execz .LBB0_4
; %bb.3:                                ;   in Loop: Header=BB0_2 Depth=1
	v_cvt_f32_u32_e32 v4, s24
	v_cvt_f32_u32_e32 v7, s25
	s_sub_u32 s0, 0, s24
	s_subb_u32 s1, 0, s25
	v_mac_f32_e32 v4, 0x4f800000, v7
	v_rcp_f32_e32 v4, v4
	v_mul_f32_e32 v4, 0x5f7ffffc, v4
	v_mul_f32_e32 v7, 0x2f800000, v4
	v_trunc_f32_e32 v7, v7
	v_mac_f32_e32 v4, 0xcf800000, v7
	v_cvt_u32_f32_e32 v7, v7
	v_cvt_u32_f32_e32 v4, v4
	v_mul_lo_u32 v8, s0, v7
	v_mul_hi_u32 v9, s0, v4
	v_mul_lo_u32 v11, s1, v4
	v_mul_lo_u32 v10, s0, v4
	v_add_u32_e32 v8, v9, v8
	v_add_u32_e32 v8, v8, v11
	v_mul_hi_u32 v9, v4, v10
	v_mul_lo_u32 v11, v4, v8
	v_mul_hi_u32 v13, v4, v8
	v_mul_hi_u32 v12, v7, v10
	v_mul_lo_u32 v10, v7, v10
	v_mul_hi_u32 v14, v7, v8
	v_add_co_u32_e32 v9, vcc, v9, v11
	v_addc_co_u32_e32 v11, vcc, 0, v13, vcc
	v_mul_lo_u32 v8, v7, v8
	v_add_co_u32_e32 v9, vcc, v9, v10
	v_addc_co_u32_e32 v9, vcc, v11, v12, vcc
	v_addc_co_u32_e32 v10, vcc, 0, v14, vcc
	v_add_co_u32_e32 v8, vcc, v9, v8
	v_addc_co_u32_e32 v9, vcc, 0, v10, vcc
	v_add_co_u32_e32 v4, vcc, v4, v8
	v_addc_co_u32_e32 v7, vcc, v7, v9, vcc
	v_mul_lo_u32 v8, s0, v7
	v_mul_hi_u32 v9, s0, v4
	v_mul_lo_u32 v10, s1, v4
	v_mul_lo_u32 v11, s0, v4
	v_add_u32_e32 v8, v9, v8
	v_add_u32_e32 v8, v8, v10
	v_mul_lo_u32 v12, v4, v8
	v_mul_hi_u32 v13, v4, v11
	v_mul_hi_u32 v14, v4, v8
	v_mul_hi_u32 v10, v7, v11
	v_mul_lo_u32 v11, v7, v11
	v_mul_hi_u32 v9, v7, v8
	v_add_co_u32_e32 v12, vcc, v13, v12
	v_addc_co_u32_e32 v13, vcc, 0, v14, vcc
	v_mul_lo_u32 v8, v7, v8
	v_add_co_u32_e32 v11, vcc, v12, v11
	v_addc_co_u32_e32 v10, vcc, v13, v10, vcc
	v_addc_co_u32_e32 v9, vcc, 0, v9, vcc
	v_add_co_u32_e32 v8, vcc, v10, v8
	v_addc_co_u32_e32 v9, vcc, 0, v9, vcc
	v_add_co_u32_e32 v4, vcc, v4, v8
	v_addc_co_u32_e32 v9, vcc, v7, v9, vcc
	v_mad_u64_u32 v[7:8], s[0:1], v5, v9, 0
	v_mul_hi_u32 v10, v5, v4
	v_add_co_u32_e32 v11, vcc, v10, v7
	v_addc_co_u32_e32 v12, vcc, 0, v8, vcc
	v_mad_u64_u32 v[7:8], s[0:1], v6, v4, 0
	v_mad_u64_u32 v[9:10], s[0:1], v6, v9, 0
	v_add_co_u32_e32 v4, vcc, v11, v7
	v_addc_co_u32_e32 v4, vcc, v12, v8, vcc
	v_addc_co_u32_e32 v7, vcc, 0, v10, vcc
	v_add_co_u32_e32 v4, vcc, v4, v9
	v_addc_co_u32_e32 v9, vcc, 0, v7, vcc
	v_mul_lo_u32 v10, s25, v4
	v_mul_lo_u32 v11, s24, v9
	v_mad_u64_u32 v[7:8], s[0:1], s24, v4, 0
	v_add3_u32 v8, v8, v11, v10
	v_sub_u32_e32 v10, v6, v8
	v_mov_b32_e32 v11, s25
	v_sub_co_u32_e32 v7, vcc, v5, v7
	v_subb_co_u32_e64 v10, s[0:1], v10, v11, vcc
	v_subrev_co_u32_e64 v11, s[0:1], s24, v7
	v_subbrev_co_u32_e64 v10, s[0:1], 0, v10, s[0:1]
	v_cmp_le_u32_e64 s[0:1], s25, v10
	v_cndmask_b32_e64 v12, 0, -1, s[0:1]
	v_cmp_le_u32_e64 s[0:1], s24, v11
	v_cndmask_b32_e64 v11, 0, -1, s[0:1]
	v_cmp_eq_u32_e64 s[0:1], s25, v10
	v_cndmask_b32_e64 v10, v12, v11, s[0:1]
	v_add_co_u32_e64 v11, s[0:1], 2, v4
	v_addc_co_u32_e64 v12, s[0:1], 0, v9, s[0:1]
	v_add_co_u32_e64 v13, s[0:1], 1, v4
	v_addc_co_u32_e64 v14, s[0:1], 0, v9, s[0:1]
	v_subb_co_u32_e32 v8, vcc, v6, v8, vcc
	v_cmp_ne_u32_e64 s[0:1], 0, v10
	v_cmp_le_u32_e32 vcc, s25, v8
	v_cndmask_b32_e64 v10, v14, v12, s[0:1]
	v_cndmask_b32_e64 v12, 0, -1, vcc
	v_cmp_le_u32_e32 vcc, s24, v7
	v_cndmask_b32_e64 v7, 0, -1, vcc
	v_cmp_eq_u32_e32 vcc, s25, v8
	v_cndmask_b32_e32 v7, v12, v7, vcc
	v_cmp_ne_u32_e32 vcc, 0, v7
	v_cndmask_b32_e64 v7, v13, v11, s[0:1]
	v_cndmask_b32_e32 v43, v9, v10, vcc
	v_cndmask_b32_e32 v42, v4, v7, vcc
.LBB0_4:                                ;   in Loop: Header=BB0_2 Depth=1
	s_andn2_saveexec_b64 s[0:1], s[26:27]
	s_cbranch_execz .LBB0_6
; %bb.5:                                ;   in Loop: Header=BB0_2 Depth=1
	v_cvt_f32_u32_e32 v4, s24
	s_sub_i32 s26, 0, s24
	v_mov_b32_e32 v43, v3
	v_rcp_iflag_f32_e32 v4, v4
	v_mul_f32_e32 v4, 0x4f7ffffe, v4
	v_cvt_u32_f32_e32 v4, v4
	v_mul_lo_u32 v7, s26, v4
	v_mul_hi_u32 v7, v4, v7
	v_add_u32_e32 v4, v4, v7
	v_mul_hi_u32 v4, v5, v4
	v_mul_lo_u32 v7, v4, s24
	v_add_u32_e32 v8, 1, v4
	v_sub_u32_e32 v7, v5, v7
	v_subrev_u32_e32 v9, s24, v7
	v_cmp_le_u32_e32 vcc, s24, v7
	v_cndmask_b32_e32 v7, v7, v9, vcc
	v_cndmask_b32_e32 v4, v4, v8, vcc
	v_add_u32_e32 v8, 1, v4
	v_cmp_le_u32_e32 vcc, s24, v7
	v_cndmask_b32_e32 v42, v4, v8, vcc
.LBB0_6:                                ;   in Loop: Header=BB0_2 Depth=1
	s_or_b64 exec, exec, s[0:1]
	v_mul_lo_u32 v4, v43, s24
	v_mul_lo_u32 v9, v42, s25
	v_mad_u64_u32 v[7:8], s[0:1], v42, s24, 0
	s_load_dwordx2 s[0:1], s[6:7], 0x0
	s_load_dwordx2 s[24:25], s[2:3], 0x0
	v_add3_u32 v4, v8, v9, v4
	v_sub_co_u32_e32 v5, vcc, v5, v7
	v_subb_co_u32_e32 v4, vcc, v6, v4, vcc
	s_waitcnt lgkmcnt(0)
	v_mul_lo_u32 v6, s0, v4
	v_mul_lo_u32 v7, s1, v5
	v_mad_u64_u32 v[1:2], s[0:1], s0, v5, v[1:2]
	v_mul_lo_u32 v4, s24, v4
	v_mul_lo_u32 v8, s25, v5
	v_mad_u64_u32 v[36:37], s[0:1], s24, v5, v[36:37]
	s_add_u32 s22, s22, 1
	s_addc_u32 s23, s23, 0
	s_add_u32 s2, s2, 8
	v_add3_u32 v37, v8, v37, v4
	s_addc_u32 s3, s3, 0
	v_mov_b32_e32 v4, s14
	s_add_u32 s6, s6, 8
	v_mov_b32_e32 v5, s15
	s_addc_u32 s7, s7, 0
	v_cmp_ge_u64_e32 vcc, s[22:23], v[4:5]
	s_add_u32 s20, s20, 8
	v_add3_u32 v2, v7, v2, v6
	s_addc_u32 s21, s21, 0
	s_cbranch_vccnz .LBB0_9
; %bb.7:                                ;   in Loop: Header=BB0_2 Depth=1
	v_mov_b32_e32 v5, v42
	v_mov_b32_e32 v6, v43
	s_branch .LBB0_2
.LBB0_8:
	v_mov_b32_e32 v37, v2
	v_mov_b32_e32 v43, v6
	;; [unrolled: 1-line block ×4, first 2 shown]
.LBB0_9:
	s_load_dwordx2 s[4:5], s[4:5], 0x28
	s_lshl_b64 s[6:7], s[14:15], 3
	s_add_u32 s2, s18, s6
	s_addc_u32 s3, s19, s7
                                        ; implicit-def: $vgpr38
                                        ; implicit-def: $vgpr40
                                        ; implicit-def: $vgpr53
                                        ; implicit-def: $vgpr52
                                        ; implicit-def: $vgpr47
                                        ; implicit-def: $vgpr49
                                        ; implicit-def: $vgpr51
                                        ; implicit-def: $vgpr46
                                        ; implicit-def: $vgpr45
                                        ; implicit-def: $vgpr44
	s_waitcnt lgkmcnt(0)
	v_cmp_gt_u64_e64 s[0:1], s[4:5], v[42:43]
	v_cmp_le_u64_e32 vcc, s[4:5], v[42:43]
	s_and_saveexec_b64 s[4:5], vcc
	s_xor_b64 s[4:5], exec, s[4:5]
	s_cbranch_execz .LBB0_11
; %bb.10:
	s_mov_b32 s14, 0x4ec4ec5
	v_mul_hi_u32 v1, v0, s14
	v_mul_u32_u24_e32 v1, 52, v1
	v_sub_u32_e32 v38, v0, v1
	v_add_u32_e32 v40, 52, v38
	v_add_u32_e32 v53, 0x68, v38
	v_add_u32_e32 v52, 0x9c, v38
	v_add_u32_e32 v47, 0xd0, v38
	v_add_u32_e32 v49, 0x104, v38
	v_add_u32_e32 v51, 0x138, v38
	v_add_u32_e32 v46, 0x1a0, v38
	v_add_u32_e32 v45, 0x208, v38
	v_add_u32_e32 v44, 0x270, v38
                                        ; implicit-def: $vgpr0
                                        ; implicit-def: $vgpr1_vgpr2
.LBB0_11:
	s_andn2_saveexec_b64 s[4:5], s[4:5]
	s_cbranch_execz .LBB0_13
; %bb.12:
	s_add_u32 s6, s16, s6
	s_addc_u32 s7, s17, s7
	s_load_dwordx2 s[6:7], s[6:7], 0x0
	s_mov_b32 s14, 0x4ec4ec5
	v_mul_hi_u32 v5, v0, s14
	s_waitcnt lgkmcnt(0)
	v_mul_lo_u32 v6, s7, v42
	v_mul_lo_u32 v7, s6, v43
	v_mad_u64_u32 v[3:4], s[6:7], s6, v42, 0
	v_mul_u32_u24_e32 v5, 52, v5
	v_sub_u32_e32 v38, v0, v5
	v_add3_u32 v4, v4, v7, v6
	v_lshlrev_b64 v[3:4], 3, v[3:4]
	v_mov_b32_e32 v0, s9
	v_add_co_u32_e32 v3, vcc, s8, v3
	v_addc_co_u32_e32 v4, vcc, v0, v4, vcc
	v_lshlrev_b64 v[0:1], 3, v[1:2]
	v_lshlrev_b32_e32 v41, 3, v38
	v_add_co_u32_e32 v39, vcc, v3, v0
	v_addc_co_u32_e32 v40, vcc, v4, v1, vcc
	v_add_co_u32_e32 v0, vcc, v39, v41
	v_addc_co_u32_e32 v1, vcc, 0, v40, vcc
	s_movk_i32 s6, 0x1000
	v_add_co_u32_e32 v10, vcc, s6, v0
	v_addc_co_u32_e32 v11, vcc, 0, v1, vcc
	v_or_b32_e32 v44, 0x1a00, v41
	v_add_co_u32_e32 v39, vcc, v39, v44
	v_addc_co_u32_e32 v40, vcc, 0, v40, vcc
	global_load_dwordx2 v[2:3], v[0:1], off offset:1664
	global_load_dwordx2 v[4:5], v[0:1], off offset:2080
	;; [unrolled: 1-line block ×12, first 2 shown]
	global_load_dwordx2 v[28:29], v[0:1], off
	global_load_dwordx2 v[30:31], v[0:1], off offset:416
	global_load_dwordx2 v[32:33], v[0:1], off offset:832
	;; [unrolled: 1-line block ×3, first 2 shown]
	v_add_co_u32_e32 v0, vcc, 0x2000, v0
	v_addc_co_u32_e32 v1, vcc, 0, v1, vcc
	global_load_dwordx2 v[54:55], v[10:11], off offset:2976
	global_load_dwordx2 v[56:57], v[10:11], off offset:3392
	global_load_dwordx2 v[58:59], v[39:40], off
	global_load_dwordx2 v[60:61], v[10:11], off offset:3808
	global_load_dwordx2 v[62:63], v[0:1], off offset:128
	;; [unrolled: 1-line block ×7, first 2 shown]
	v_add_u32_e32 v0, 0, v41
	v_add_u32_e32 v1, 0x400, v0
	;; [unrolled: 1-line block ×16, first 2 shown]
	s_waitcnt vmcnt(24)
	ds_write2_b64 v1, v[2:3], v[4:5] offset0:80 offset1:132
	s_waitcnt vmcnt(22)
	ds_write2_b64 v10, v[6:7], v[8:9] offset0:56 offset1:108
	;; [unrolled: 2-line block ×3, first 2 shown]
	s_waitcnt vmcnt(12)
	ds_write2_b64 v0, v[28:29], v[30:31] offset1:52
	s_waitcnt vmcnt(10)
	ds_write2_b64 v0, v[32:33], v[34:35] offset0:104 offset1:156
	ds_write2_b64 v11, v[16:17], v[18:19] offset0:8 offset1:60
	;; [unrolled: 1-line block ×4, first 2 shown]
	s_waitcnt vmcnt(7)
	ds_write2_b64 v41, v[58:59], v[54:55] offset0:64 offset1:116
	s_waitcnt vmcnt(6)
	ds_write2_b64 v41, v[56:57], v[60:61] offset0:168 offset1:220
	;; [unrolled: 2-line block ×5, first 2 shown]
	v_add_u32_e32 v44, 0x270, v38
.LBB0_13:
	s_or_b64 exec, exec, s[4:5]
	v_lshl_add_u32 v76, v38, 3, 0
	v_add_u32_e32 v39, 0x1000, v76
	s_load_dwordx2 s[4:5], s[2:3], 0x0
	s_waitcnt lgkmcnt(0)
	; wave barrier
	s_waitcnt lgkmcnt(0)
	ds_read2_b64 v[0:3], v76 offset1:52
	ds_read2_b64 v[4:7], v39 offset0:112 offset1:164
	v_add_u32_e32 v8, 0x1400, v76
	ds_read2_b64 v[8:11], v8 offset0:88 offset1:140
	ds_read2_b64 v[12:15], v76 offset0:104 offset1:156
	v_add_u32_e32 v83, 0x1800, v76
	ds_read2_b64 v[16:19], v83 offset0:64 offset1:116
	v_add_u32_e32 v20, 0x400, v76
	ds_read2_b64 v[20:23], v20 offset0:80 offset1:132
	ds_read2_b64 v[24:27], v83 offset0:168 offset1:220
	v_add_u32_e32 v72, 0x800, v76
	v_add_u32_e32 v84, 0x2000, v76
	;; [unrolled: 1-line block ×3, first 2 shown]
	s_waitcnt lgkmcnt(5)
	v_sub_f32_e32 v6, v0, v6
	v_sub_f32_e32 v7, v1, v7
	ds_read2_b64 v[28:31], v72 offset0:56 offset1:108
	ds_read2_b64 v[32:35], v84 offset0:16 offset1:68
	;; [unrolled: 1-line block ×6, first 2 shown]
	v_fma_f32 v0, v0, 2.0, -v6
	v_fma_f32 v1, v1, 2.0, -v7
	s_waitcnt lgkmcnt(10)
	v_sub_f32_e32 v8, v2, v8
	v_sub_f32_e32 v9, v3, v9
	v_lshl_add_u32 v41, v38, 4, 0
	v_fma_f32 v2, v2, 2.0, -v8
	v_fma_f32 v3, v3, 2.0, -v9
	s_waitcnt lgkmcnt(9)
	v_sub_f32_e32 v10, v12, v10
	v_sub_f32_e32 v11, v13, v11
	s_waitcnt lgkmcnt(0)
	; wave barrier
	s_waitcnt lgkmcnt(0)
	ds_write2_b64 v41, v[0:1], v[6:7] offset1:1
	v_lshl_add_u32 v0, v40, 4, 0
	v_fma_f32 v12, v12, 2.0, -v10
	v_fma_f32 v13, v13, 2.0, -v11
	v_sub_f32_e32 v16, v14, v16
	v_sub_f32_e32 v17, v15, v17
	ds_write2_b64 v0, v[2:3], v[8:9] offset1:1
	v_lshl_add_u32 v0, v53, 4, 0
	v_fma_f32 v14, v14, 2.0, -v16
	v_fma_f32 v15, v15, 2.0, -v17
	v_sub_f32_e32 v18, v20, v18
	v_sub_f32_e32 v19, v21, v19
	ds_write2_b64 v0, v[12:13], v[10:11] offset1:1
	v_lshl_add_u32 v0, v52, 4, 0
	v_fma_f32 v20, v20, 2.0, -v18
	v_fma_f32 v21, v21, 2.0, -v19
	v_sub_f32_e32 v24, v22, v24
	v_sub_f32_e32 v25, v23, v25
	ds_write2_b64 v0, v[14:15], v[16:17] offset1:1
	v_lshl_add_u32 v0, v47, 4, 0
	v_fma_f32 v22, v22, 2.0, -v24
	v_fma_f32 v23, v23, 2.0, -v25
	v_sub_f32_e32 v26, v28, v26
	v_sub_f32_e32 v27, v29, v27
	v_sub_f32_e32 v32, v30, v32
	v_sub_f32_e32 v33, v31, v33
	ds_write2_b64 v0, v[20:21], v[18:19] offset1:1
	v_lshl_add_u32 v0, v49, 4, 0
	v_fma_f32 v28, v28, 2.0, -v26
	v_fma_f32 v29, v29, 2.0, -v27
	;; [unrolled: 1-line block ×4, first 2 shown]
	v_sub_f32_e32 v34, v54, v34
	v_sub_f32_e32 v35, v55, v35
	;; [unrolled: 1-line block ×4, first 2 shown]
	ds_write2_b64 v0, v[22:23], v[24:25] offset1:1
	v_lshl_add_u32 v85, v51, 4, 0
	v_add_u32_e32 v0, 0x16c0, v41
	v_fma_f32 v54, v54, 2.0, -v34
	v_fma_f32 v55, v55, 2.0, -v35
	;; [unrolled: 1-line block ×4, first 2 shown]
	v_sub_f32_e32 v60, v62, v60
	v_sub_f32_e32 v61, v63, v61
	;; [unrolled: 1-line block ×4, first 2 shown]
	ds_write2_b64 v85, v[28:29], v[26:27] offset1:1
	ds_write2_b64 v0, v[30:31], v[32:33] offset1:1
	v_lshl_add_u32 v79, v46, 4, 0
	v_add_u32_e32 v0, 0x1d40, v41
	v_fma_f32 v62, v62, 2.0, -v60
	v_fma_f32 v63, v63, 2.0, -v61
	v_fma_f32 v64, v64, 2.0, -v66
	v_fma_f32 v65, v65, 2.0, -v67
	ds_write2_b64 v79, v[54:55], v[34:35] offset1:1
	ds_write2_b64 v0, v[56:57], v[58:59] offset1:1
	v_lshl_add_u32 v78, v45, 4, 0
	v_add_u32_e32 v0, 0x23c0, v41
	v_and_b32_e32 v87, 1, v38
	v_sub_f32_e32 v68, v4, v68
	v_sub_f32_e32 v69, v5, v69
	ds_write2_b64 v78, v[62:63], v[60:61] offset1:1
	ds_write2_b64 v0, v[64:65], v[66:67] offset1:1
	v_mul_u32_u24_e32 v0, 12, v87
	v_fma_f32 v4, v4, 2.0, -v68
	v_fma_f32 v5, v5, 2.0, -v69
	v_lshl_add_u32 v77, v44, 4, 0
	v_lshlrev_b32_e32 v0, 3, v0
	ds_write2_b64 v77, v[4:5], v[68:69] offset1:1
	s_waitcnt lgkmcnt(0)
	; wave barrier
	s_waitcnt lgkmcnt(0)
	global_load_dwordx4 v[32:35], v0, s[12:13]
	global_load_dwordx4 v[28:31], v0, s[12:13] offset:16
	global_load_dwordx4 v[18:21], v0, s[12:13] offset:32
	;; [unrolled: 1-line block ×5, first 2 shown]
	v_lshlrev_b32_e32 v86, 3, v51
	v_lshl_add_u32 v80, v47, 3, 0
	v_sub_u32_e32 v71, v85, v86
	v_lshlrev_b32_e32 v48, 3, v46
	v_lshlrev_b32_e32 v50, 3, v45
	;; [unrolled: 1-line block ×3, first 2 shown]
	v_add_u32_e32 v73, 0x1c00, v76
	ds_read2_b64 v[0:3], v76 offset1:156
	v_lshl_add_u32 v81, v53, 3, 0
	v_sub_u32_e32 v74, v79, v48
	v_sub_u32_e32 v75, v78, v50
	;; [unrolled: 1-line block ×3, first 2 shown]
	ds_read_b64 v[4:5], v71
	ds_read_b64 v[6:7], v74
	;; [unrolled: 1-line block ×4, first 2 shown]
	ds_read2_b64 v[22:25], v39 offset0:164 offset1:216
	ds_read2_b64 v[54:57], v83 offset0:12 offset1:64
	;; [unrolled: 1-line block ×6, first 2 shown]
	v_lshl_add_u32 v82, v40, 3, 0
	ds_read_b64 v[8:9], v80
	ds_read_b64 v[12:13], v82
	;; [unrolled: 1-line block ×3, first 2 shown]
	ds_read2_b64 v[113:116], v72 offset0:4 offset1:108
	v_add_u32_e32 v70, 0xc00, v76
	ds_read2_b64 v[117:120], v70 offset0:84 offset1:188
	ds_read_b64 v[121:122], v76 offset:10400
	s_mov_b32 s6, 0x3f62ad3f
	s_mov_b32 s7, 0x3f116cb1
	;; [unrolled: 1-line block ×6, first 2 shown]
	s_waitcnt lgkmcnt(0)
	; wave barrier
	s_waitcnt lgkmcnt(0)
	v_cmp_gt_u32_e32 vcc, 26, v38
	s_waitcnt vmcnt(5)
	v_mul_f32_e32 v26, v33, v15
	v_fma_f32 v123, v32, v14, -v26
	v_mul_f32_e32 v124, v33, v14
	v_mul_f32_e32 v14, v35, v9
	v_fma_f32 v63, v34, v8, -v14
	v_mul_f32_e32 v62, v35, v8
	s_waitcnt vmcnt(4)
	v_mul_f32_e32 v8, v5, v29
	v_fma_f32 v59, v4, v28, -v8
	v_mul_f32_e32 v58, v4, v29
	v_mul_f32_e32 v4, v7, v31
	v_fmac_f32_e32 v124, v32, v15
	v_fma_f32 v15, v6, v30, -v4
	s_waitcnt vmcnt(3)
	v_mul_f32_e32 v4, v11, v19
	v_fmac_f32_e32 v62, v34, v9
	v_fma_f32 v9, v10, v18, -v4
	v_mul_f32_e32 v4, v17, v21
	v_fmac_f32_e32 v58, v5, v28
	v_mul_f32_e32 v8, v10, v19
	v_fma_f32 v5, v16, v20, -v4
	v_mul_f32_e32 v4, v16, v21
	v_fmac_f32_e32 v8, v11, v18
	v_fmac_f32_e32 v4, v17, v20
	v_mul_f32_e32 v11, v23, v21
	v_mul_f32_e32 v17, v22, v21
	s_waitcnt vmcnt(2)
	v_mul_f32_e32 v10, v57, v69
	v_fma_f32 v16, v22, v20, -v11
	v_fmac_f32_e32 v17, v23, v20
	s_waitcnt vmcnt(1)
	v_mul_f32_e32 v20, v100, v90
	v_fma_f32 v10, v56, v68, -v10
	v_mul_f32_e32 v11, v56, v69
	v_fma_f32 v56, v99, v89, -v20
	v_mul_f32_e32 v20, v120, v19
	v_mul_f32_e32 v21, v119, v19
	v_fma_f32 v20, v119, v18, -v20
	v_fmac_f32_e32 v21, v120, v18
	v_mul_f32_e32 v18, v104, v92
	v_mul_f32_e32 v14, v6, v31
	;; [unrolled: 1-line block ×3, first 2 shown]
	v_fma_f32 v60, v103, v91, -v18
	v_mul_f32_e32 v18, v118, v31
	v_fmac_f32_e32 v14, v7, v30
	v_fma_f32 v7, v24, v66, -v6
	v_mul_f32_e32 v6, v24, v67
	v_fma_f32 v24, v117, v30, -v18
	s_waitcnt vmcnt(0)
	v_mul_f32_e32 v18, v108, v94
	v_fma_f32 v64, v107, v93, -v18
	v_mul_f32_e32 v18, v116, v29
	v_fma_f32 v26, v115, v28, -v18
	v_mul_f32_e32 v18, v112, v96
	v_fmac_f32_e32 v6, v25, v66
	v_fmac_f32_e32 v11, v57, v68
	v_mul_f32_e32 v57, v99, v90
	v_mul_f32_e32 v25, v117, v31
	v_fma_f32 v99, v111, v95, -v18
	v_mul_f32_e32 v18, v114, v35
	v_fmac_f32_e32 v25, v118, v30
	v_fma_f32 v30, v113, v34, -v18
	v_mul_f32_e32 v31, v113, v35
	v_mul_f32_e32 v18, v3, v33
	v_fmac_f32_e32 v31, v114, v34
	v_fma_f32 v34, v2, v32, -v18
	v_mul_f32_e32 v35, v2, v33
	v_mul_f32_e32 v2, v55, v67
	v_fma_f32 v18, v54, v66, -v2
	v_mul_f32_e32 v2, v98, v69
	v_mul_f32_e32 v27, v115, v29
	v_fma_f32 v22, v97, v68, -v2
	v_mul_f32_e32 v2, v102, v90
	v_fmac_f32_e32 v27, v116, v28
	v_fma_f32 v28, v101, v89, -v2
	v_mul_f32_e32 v2, v106, v92
	v_fmac_f32_e32 v35, v3, v32
	v_fma_f32 v32, v105, v91, -v2
	v_mul_f32_e32 v2, v110, v94
	v_mul_f32_e32 v19, v54, v67
	;; [unrolled: 1-line block ×3, first 2 shown]
	v_fma_f32 v54, v109, v93, -v2
	v_mul_f32_e32 v2, v122, v96
	v_fmac_f32_e32 v57, v100, v89
	v_fmac_f32_e32 v29, v102, v89
	v_fma_f32 v89, v121, v95, -v2
	v_add_f32_e32 v2, v123, v0
	v_add_f32_e32 v3, v124, v1
	;; [unrolled: 1-line block ×15, first 2 shown]
	v_mul_f32_e32 v61, v103, v92
	v_mul_f32_e32 v100, v111, v96
	;; [unrolled: 1-line block ×3, first 2 shown]
	v_add_f32_e32 v3, v3, v11
	v_add_f32_e32 v2, v2, v56
	v_fmac_f32_e32 v61, v104, v91
	v_mul_f32_e32 v65, v107, v94
	v_fmac_f32_e32 v100, v112, v95
	v_fmac_f32_e32 v19, v55, v66
	;; [unrolled: 1-line block ×3, first 2 shown]
	v_mul_f32_e32 v55, v109, v94
	v_add_f32_e32 v3, v3, v57
	v_add_f32_e32 v2, v2, v60
	v_sub_f32_e32 v68, v123, v99
	v_fmac_f32_e32 v65, v108, v93
	v_mul_f32_e32 v33, v105, v92
	v_fmac_f32_e32 v55, v110, v93
	v_mul_f32_e32 v90, v121, v96
	v_add_f32_e32 v3, v3, v61
	v_add_f32_e32 v2, v2, v64
	v_sub_f32_e32 v69, v124, v100
	v_mul_f32_e32 v93, 0xbeedf032, v68
	v_mul_f32_e32 v97, 0xbf52af12, v68
	;; [unrolled: 1-line block ×6, first 2 shown]
	v_fmac_f32_e32 v33, v106, v91
	v_fmac_f32_e32 v90, v122, v95
	v_add_f32_e32 v3, v3, v65
	v_add_f32_e32 v2, v2, v99
	;; [unrolled: 1-line block ×4, first 2 shown]
	v_mul_f32_e32 v91, 0xbeedf032, v69
	v_mov_b32_e32 v94, v93
	v_mul_f32_e32 v95, 0xbf52af12, v69
	v_mov_b32_e32 v98, v97
	;; [unrolled: 2-line block ×6, first 2 shown]
	v_add_f32_e32 v3, v3, v100
	v_fma_f32 v92, v66, s6, -v91
	v_fmac_f32_e32 v94, 0x3f62ad3f, v67
	v_fmac_f32_e32 v91, 0x3f62ad3f, v66
	v_fma_f32 v93, v67, s6, -v93
	v_fma_f32 v96, v66, s7, -v95
	v_fmac_f32_e32 v98, 0x3f116cb1, v67
	v_fmac_f32_e32 v95, 0x3f116cb1, v66
	v_fma_f32 v97, v67, s7, -v97
	;; [unrolled: 4-line block ×6, first 2 shown]
	v_add_f32_e32 v67, v62, v65
	v_sub_f32_e32 v62, v62, v65
	v_add_f32_e32 v94, v94, v1
	v_add_f32_e32 v93, v93, v1
	;; [unrolled: 1-line block ×13, first 2 shown]
	v_sub_f32_e32 v63, v63, v64
	v_mul_f32_e32 v64, 0xbf52af12, v62
	v_add_f32_e32 v91, v91, v0
	v_fma_f32 v65, v66, s7, -v64
	v_fmac_f32_e32 v64, 0x3f116cb1, v66
	v_add_f32_e32 v92, v92, v0
	v_mul_f32_e32 v68, 0xbf52af12, v63
	v_add_f32_e32 v64, v64, v91
	v_mul_f32_e32 v91, 0xbf6f5d39, v62
	v_add_f32_e32 v96, v96, v0
	v_add_f32_e32 v95, v95, v0
	;; [unrolled: 1-line block ×11, first 2 shown]
	v_mov_b32_e32 v69, v68
	v_fma_f32 v68, v67, s7, -v68
	v_fma_f32 v92, v66, s9, -v91
	v_fmac_f32_e32 v91, 0xbeb58ec6, v66
	v_fmac_f32_e32 v69, 0x3f116cb1, v67
	v_add_f32_e32 v68, v68, v93
	v_mul_f32_e32 v93, 0xbf6f5d39, v63
	v_add_f32_e32 v91, v91, v95
	v_mul_f32_e32 v95, 0xbe750f2a, v62
	v_add_f32_e32 v69, v69, v94
	v_add_f32_e32 v92, v92, v96
	v_mov_b32_e32 v94, v93
	v_fma_f32 v93, v67, s9, -v93
	v_fma_f32 v96, v66, s15, -v95
	v_fmac_f32_e32 v95, 0xbf788fa5, v66
	v_fmac_f32_e32 v94, 0xbeb58ec6, v67
	v_add_f32_e32 v93, v93, v97
	v_mul_f32_e32 v97, 0xbe750f2a, v63
	v_add_f32_e32 v95, v95, v99
	v_mul_f32_e32 v99, 0x3f29c268, v62
	v_add_f32_e32 v94, v94, v98
	v_add_f32_e32 v96, v96, v100
	;; [unrolled: 11-line block ×3, first 2 shown]
	v_mov_b32_e32 v102, v101
	v_fma_f32 v101, v67, s14, -v101
	v_fma_f32 v104, v66, s8, -v103
	v_fmac_f32_e32 v103, 0x3df6dbef, v66
	v_mul_f32_e32 v62, 0x3eedf032, v62
	v_add_f32_e32 v101, v101, v105
	v_mul_f32_e32 v105, 0x3f7e222b, v63
	v_add_f32_e32 v103, v103, v107
	v_fma_f32 v107, v66, s6, -v62
	v_mul_f32_e32 v63, 0x3eedf032, v63
	v_fmac_f32_e32 v62, 0x3f62ad3f, v66
	v_add_f32_e32 v104, v104, v108
	v_mov_b32_e32 v108, v63
	v_add_f32_e32 v0, v62, v0
	v_fma_f32 v62, v67, s6, -v63
	v_add_f32_e32 v63, v58, v61
	v_sub_f32_e32 v58, v58, v61
	v_add_f32_e32 v1, v62, v1
	v_add_f32_e32 v62, v59, v60
	v_sub_f32_e32 v59, v59, v60
	v_mul_f32_e32 v60, 0xbf7e222b, v58
	v_fma_f32 v61, v62, s8, -v60
	v_fmac_f32_e32 v102, 0xbf3f9e67, v67
	v_add_f32_e32 v61, v61, v65
	v_mul_f32_e32 v65, 0xbf7e222b, v59
	v_fmac_f32_e32 v60, 0x3df6dbef, v62
	v_add_f32_e32 v102, v102, v106
	v_mov_b32_e32 v106, v105
	v_mov_b32_e32 v66, v65
	v_add_f32_e32 v60, v60, v64
	v_fma_f32 v64, v63, s8, -v65
	v_mul_f32_e32 v65, 0xbe750f2a, v58
	v_fmac_f32_e32 v106, 0x3df6dbef, v67
	v_fma_f32 v105, v67, s8, -v105
	v_fmac_f32_e32 v108, 0x3f62ad3f, v67
	v_fma_f32 v67, v62, s15, -v65
	v_fmac_f32_e32 v65, 0xbf788fa5, v62
	v_fmac_f32_e32 v66, 0x3df6dbef, v63
	v_add_f32_e32 v64, v64, v68
	v_mul_f32_e32 v68, 0xbe750f2a, v59
	v_add_f32_e32 v65, v65, v91
	v_mul_f32_e32 v91, 0x3f6f5d39, v58
	v_add_f32_e32 v66, v66, v69
	v_add_f32_e32 v67, v67, v92
	v_mov_b32_e32 v69, v68
	v_fma_f32 v68, v63, s15, -v68
	v_fma_f32 v92, v62, s9, -v91
	v_fmac_f32_e32 v91, 0xbeb58ec6, v62
	v_fmac_f32_e32 v69, 0xbf788fa5, v63
	v_add_f32_e32 v68, v68, v93
	v_mul_f32_e32 v93, 0x3f6f5d39, v59
	v_add_f32_e32 v91, v91, v95
	v_mul_f32_e32 v95, 0x3eedf032, v58
	v_add_f32_e32 v69, v69, v94
	v_add_f32_e32 v92, v92, v96
	v_mov_b32_e32 v94, v93
	v_fma_f32 v93, v63, s9, -v93
	v_fma_f32 v96, v62, s6, -v95
	v_fmac_f32_e32 v95, 0x3f62ad3f, v62
	v_fmac_f32_e32 v94, 0xbeb58ec6, v63
	v_add_f32_e32 v93, v93, v97
	v_mul_f32_e32 v97, 0x3eedf032, v59
	v_add_f32_e32 v95, v95, v99
	v_mul_f32_e32 v99, 0xbf52af12, v58
	v_add_f32_e32 v94, v94, v98
	v_add_f32_e32 v96, v96, v100
	v_mov_b32_e32 v98, v97
	v_fma_f32 v97, v63, s6, -v97
	v_fma_f32 v100, v62, s7, -v99
	v_fmac_f32_e32 v99, 0x3f116cb1, v62
	v_mul_f32_e32 v58, 0xbf29c268, v58
	v_add_f32_e32 v97, v97, v101
	v_mul_f32_e32 v101, 0xbf52af12, v59
	v_add_f32_e32 v99, v99, v103
	v_fma_f32 v103, v62, s14, -v58
	v_mul_f32_e32 v59, 0xbf29c268, v59
	v_fmac_f32_e32 v58, 0xbf3f9e67, v62
	v_add_f32_e32 v100, v100, v104
	v_mov_b32_e32 v104, v59
	v_add_f32_e32 v0, v58, v0
	v_fma_f32 v58, v63, s14, -v59
	v_add_f32_e32 v59, v14, v57
	v_sub_f32_e32 v14, v14, v57
	v_add_f32_e32 v1, v58, v1
	v_add_f32_e32 v58, v15, v56
	v_sub_f32_e32 v15, v15, v56
	v_mul_f32_e32 v56, 0xbf6f5d39, v14
	v_fma_f32 v57, v58, s9, -v56
	v_fmac_f32_e32 v98, 0x3f62ad3f, v63
	v_add_f32_e32 v57, v57, v61
	v_mul_f32_e32 v61, 0xbf6f5d39, v15
	v_fmac_f32_e32 v56, 0xbeb58ec6, v58
	v_add_f32_e32 v98, v98, v102
	v_mov_b32_e32 v102, v101
	v_mov_b32_e32 v62, v61
	v_add_f32_e32 v56, v56, v60
	v_fma_f32 v60, v59, s9, -v61
	v_mul_f32_e32 v61, 0x3f29c268, v14
	v_fmac_f32_e32 v102, 0x3f116cb1, v63
	v_fma_f32 v101, v63, s7, -v101
	v_fmac_f32_e32 v104, 0xbf3f9e67, v63
	v_fma_f32 v63, v58, s14, -v61
	v_fmac_f32_e32 v61, 0xbf3f9e67, v58
	v_fmac_f32_e32 v62, 0xbeb58ec6, v59
	v_add_f32_e32 v60, v60, v64
	v_mul_f32_e32 v64, 0x3f29c268, v15
	v_add_f32_e32 v61, v61, v65
	v_mul_f32_e32 v65, 0x3eedf032, v14
	v_add_f32_e32 v62, v62, v66
	v_add_f32_e32 v63, v63, v67
	v_mov_b32_e32 v66, v64
	v_fma_f32 v64, v59, s14, -v64
	v_fma_f32 v67, v58, s6, -v65
	v_fmac_f32_e32 v65, 0x3f62ad3f, v58
	v_fmac_f32_e32 v66, 0xbf3f9e67, v59
	v_add_f32_e32 v64, v64, v68
	v_mul_f32_e32 v68, 0x3eedf032, v15
	v_add_f32_e32 v65, v65, v91
	v_mul_f32_e32 v91, 0xbf7e222b, v14
	v_add_f32_e32 v66, v66, v69
	v_add_f32_e32 v67, v67, v92
	v_mov_b32_e32 v69, v68
	v_fma_f32 v68, v59, s6, -v68
	;; [unrolled: 11-line block ×3, first 2 shown]
	v_fma_f32 v96, v58, s15, -v95
	v_fmac_f32_e32 v95, 0xbf788fa5, v58
	v_mul_f32_e32 v14, 0x3f52af12, v14
	v_add_f32_e32 v93, v93, v97
	v_mul_f32_e32 v97, 0x3e750f2a, v15
	v_add_f32_e32 v95, v95, v99
	v_fma_f32 v99, v58, s7, -v14
	v_mul_f32_e32 v15, 0x3f52af12, v15
	v_fmac_f32_e32 v14, 0x3f116cb1, v58
	v_add_f32_e32 v96, v96, v100
	v_mov_b32_e32 v100, v15
	v_add_f32_e32 v0, v14, v0
	v_fma_f32 v14, v59, s7, -v15
	v_add_f32_e32 v15, v8, v11
	v_sub_f32_e32 v8, v8, v11
	v_add_f32_e32 v1, v14, v1
	v_add_f32_e32 v14, v9, v10
	v_sub_f32_e32 v9, v9, v10
	v_mul_f32_e32 v10, 0xbf29c268, v8
	v_fma_f32 v11, v14, s14, -v10
	v_add_f32_e32 v11, v11, v57
	v_mul_f32_e32 v57, 0xbf29c268, v9
	v_fmac_f32_e32 v10, 0xbf3f9e67, v14
	v_mov_b32_e32 v58, v57
	v_add_f32_e32 v10, v10, v56
	v_fma_f32 v56, v15, s14, -v57
	v_fmac_f32_e32 v94, 0x3df6dbef, v59
	v_fmac_f32_e32 v58, 0xbf3f9e67, v15
	v_add_f32_e32 v56, v56, v60
	v_mul_f32_e32 v60, 0x3f7e222b, v9
	v_add_f32_e32 v94, v94, v98
	v_mov_b32_e32 v98, v97
	v_add_f32_e32 v58, v58, v62
	v_mul_f32_e32 v57, 0x3f7e222b, v8
	v_mov_b32_e32 v62, v60
	v_fma_f32 v60, v15, s8, -v60
	v_add_f32_e32 v105, v105, v109
	v_fmac_f32_e32 v98, 0xbf788fa5, v59
	v_fma_f32 v97, v59, s15, -v97
	v_fmac_f32_e32 v100, 0x3f116cb1, v59
	v_fma_f32 v59, v14, s8, -v57
	v_fmac_f32_e32 v62, 0x3df6dbef, v15
	v_fmac_f32_e32 v57, 0x3df6dbef, v14
	v_add_f32_e32 v60, v60, v64
	v_mul_f32_e32 v64, 0xbf52af12, v9
	v_add_f32_e32 v101, v101, v105
	v_add_f32_e32 v62, v62, v66
	;; [unrolled: 1-line block ×3, first 2 shown]
	v_mul_f32_e32 v61, 0xbf52af12, v8
	v_mov_b32_e32 v66, v64
	v_fma_f32 v64, v15, s7, -v64
	v_add_f32_e32 v97, v97, v101
	v_add_f32_e32 v59, v59, v63
	v_fma_f32 v63, v14, s7, -v61
	v_fmac_f32_e32 v61, 0x3f116cb1, v14
	v_add_f32_e32 v101, v64, v68
	v_mul_f32_e32 v64, 0x3e750f2a, v8
	v_add_f32_e32 v61, v61, v65
	v_fma_f32 v65, v14, s15, -v64
	v_add_f32_e32 v92, v65, v92
	v_mul_f32_e32 v65, 0x3e750f2a, v9
	v_fmac_f32_e32 v64, 0xbf788fa5, v14
	v_add_f32_e32 v91, v64, v91
	v_fma_f32 v64, v15, s15, -v65
	v_fmac_f32_e32 v66, 0x3f116cb1, v15
	v_add_f32_e32 v93, v64, v93
	v_mul_f32_e32 v64, 0x3eedf032, v8
	v_add_f32_e32 v63, v63, v67
	v_add_f32_e32 v67, v66, v69
	v_mov_b32_e32 v66, v65
	v_fma_f32 v65, v14, s6, -v64
	v_add_f32_e32 v107, v107, v111
	v_add_f32_e32 v96, v65, v96
	v_mul_f32_e32 v65, 0x3eedf032, v9
	v_fmac_f32_e32 v64, 0x3f62ad3f, v14
	v_add_f32_e32 v103, v103, v107
	v_add_f32_e32 v95, v64, v95
	v_fma_f32 v64, v15, s6, -v65
	v_mul_f32_e32 v8, 0xbf6f5d39, v8
	v_add_f32_e32 v106, v106, v110
	v_add_f32_e32 v99, v99, v103
	v_fmac_f32_e32 v66, 0xbf788fa5, v15
	v_add_f32_e32 v97, v64, v97
	v_fma_f32 v64, v14, s9, -v8
	v_mul_f32_e32 v9, 0xbf6f5d39, v9
	v_fmac_f32_e32 v8, 0xbeb58ec6, v14
	v_add_f32_e32 v108, v108, v112
	v_add_f32_e32 v102, v102, v106
	;; [unrolled: 1-line block ×3, first 2 shown]
	v_mov_b32_e32 v66, v65
	v_add_f32_e32 v99, v64, v99
	v_mov_b32_e32 v64, v9
	v_add_f32_e32 v14, v8, v0
	v_fma_f32 v0, v15, s9, -v9
	v_sub_f32_e32 v105, v4, v6
	v_add_f32_e32 v104, v104, v108
	v_add_f32_e32 v98, v98, v102
	v_fmac_f32_e32 v66, 0x3f62ad3f, v15
	v_fmac_f32_e32 v64, 0xbeb58ec6, v15
	v_add_f32_e32 v15, v0, v1
	v_add_f32_e32 v102, v5, v7
	v_mul_f32_e32 v0, 0xbe750f2a, v105
	v_add_f32_e32 v100, v100, v104
	v_sub_f32_e32 v104, v5, v7
	v_fma_f32 v1, v102, s15, -v0
	v_add_f32_e32 v68, v1, v11
	v_mul_f32_e32 v1, 0xbe750f2a, v104
	v_add_f32_e32 v103, v4, v6
	v_mov_b32_e32 v4, v1
	v_fmac_f32_e32 v4, 0xbf788fa5, v103
	v_add_f32_e32 v69, v4, v58
	v_mul_f32_e32 v4, 0x3eedf032, v105
	v_fma_f32 v5, v102, s6, -v4
	v_add_f32_e32 v100, v64, v100
	v_add_f32_e32 v64, v5, v59
	v_mul_f32_e32 v5, 0x3eedf032, v104
	v_mov_b32_e32 v6, v5
	v_fmac_f32_e32 v6, 0x3f62ad3f, v103
	v_add_f32_e32 v65, v6, v62
	v_mul_f32_e32 v6, 0xbf29c268, v105
	v_fma_f32 v7, v102, s14, -v6
	v_add_f32_e32 v98, v66, v98
	v_add_f32_e32 v66, v7, v63
	v_mul_f32_e32 v7, 0xbf29c268, v104
	v_mov_b32_e32 v8, v7
	v_fmac_f32_e32 v8, 0xbf3f9e67, v103
	v_add_f32_e32 v67, v8, v67
	v_mul_f32_e32 v8, 0x3f52af12, v105
	v_fma_f32 v5, v103, s6, -v5
	v_fma_f32 v9, v102, s7, -v8
	v_fmac_f32_e32 v0, 0xbf788fa5, v102
	v_add_f32_e32 v5, v5, v60
	v_add_f32_e32 v60, v9, v92
	v_mul_f32_e32 v9, 0x3f52af12, v104
	v_add_f32_e32 v0, v0, v10
	v_mov_b32_e32 v10, v9
	v_fmac_f32_e32 v6, 0xbf3f9e67, v102
	v_fmac_f32_e32 v10, 0x3f116cb1, v103
	v_add_f32_e32 v6, v6, v61
	v_add_f32_e32 v61, v10, v94
	v_mul_f32_e32 v10, 0xbf6f5d39, v105
	v_fma_f32 v11, v102, s9, -v10
	v_fma_f32 v1, v103, s15, -v1
	v_add_f32_e32 v62, v11, v96
	v_mul_f32_e32 v11, 0xbf6f5d39, v104
	v_add_f32_e32 v1, v1, v56
	v_mov_b32_e32 v56, v11
	v_fmac_f32_e32 v56, 0xbeb58ec6, v103
	v_mul_f32_e32 v58, 0x3f7e222b, v105
	v_add_f32_e32 v63, v56, v98
	v_fma_f32 v56, v102, s8, -v58
	v_mul_f32_e32 v59, 0x3f7e222b, v104
	v_fmac_f32_e32 v58, 0x3df6dbef, v102
	v_fmac_f32_e32 v4, 0x3f62ad3f, v102
	v_add_f32_e32 v58, v58, v14
	v_fma_f32 v14, v103, s8, -v59
	v_add_f32_e32 v4, v4, v57
	v_mov_b32_e32 v57, v59
	v_add_f32_e32 v59, v14, v15
	v_add_f32_e32 v14, v34, v12
	;; [unrolled: 1-line block ×18, first 2 shown]
	v_fmac_f32_e32 v8, 0x3f116cb1, v102
	v_add_f32_e32 v15, v15, v29
	v_add_f32_e32 v14, v14, v32
	v_fma_f32 v7, v103, s14, -v7
	v_add_f32_e32 v8, v8, v91
	v_fma_f32 v9, v103, s7, -v9
	v_fmac_f32_e32 v10, 0xbeb58ec6, v102
	v_fma_f32 v11, v103, s9, -v11
	v_add_f32_e32 v15, v15, v33
	v_add_f32_e32 v14, v14, v54
	;; [unrolled: 1-line block ×4, first 2 shown]
	v_sub_f32_e32 v34, v34, v89
	v_sub_f32_e32 v35, v35, v90
	v_add_f32_e32 v7, v7, v101
	v_add_f32_e32 v9, v9, v93
	;; [unrolled: 1-line block ×5, first 2 shown]
	v_fmac_f32_e32 v57, 0x3df6dbef, v103
	v_add_f32_e32 v15, v15, v55
	v_add_f32_e32 v14, v14, v89
	v_mul_f32_e32 v89, 0xbeedf032, v35
	v_mul_f32_e32 v93, 0xbeedf032, v34
	;; [unrolled: 1-line block ×12, first 2 shown]
	v_add_f32_e32 v57, v57, v100
	v_add_f32_e32 v15, v15, v90
	v_fma_f32 v90, v91, s6, -v89
	v_mov_b32_e32 v94, v93
	v_fmac_f32_e32 v89, 0x3f62ad3f, v91
	v_fma_f32 v96, v91, s7, -v95
	v_mov_b32_e32 v98, v97
	v_fmac_f32_e32 v95, 0x3f116cb1, v91
	;; [unrolled: 3-line block ×6, first 2 shown]
	v_add_f32_e32 v90, v90, v12
	v_fmac_f32_e32 v94, 0x3f62ad3f, v92
	v_add_f32_e32 v89, v89, v12
	v_fma_f32 v93, v92, s6, -v93
	v_add_f32_e32 v96, v96, v12
	v_fmac_f32_e32 v98, 0x3f116cb1, v92
	v_add_f32_e32 v95, v95, v12
	v_fma_f32 v97, v92, s7, -v97
	;; [unrolled: 4-line block ×6, first 2 shown]
	v_add_f32_e32 v35, v31, v55
	v_sub_f32_e32 v31, v31, v55
	v_add_f32_e32 v94, v94, v13
	v_add_f32_e32 v93, v93, v13
	;; [unrolled: 1-line block ×13, first 2 shown]
	v_sub_f32_e32 v30, v30, v54
	v_mul_f32_e32 v54, 0xbf52af12, v31
	v_fma_f32 v55, v34, s7, -v54
	v_add_f32_e32 v55, v55, v90
	v_mul_f32_e32 v90, 0xbf52af12, v30
	v_fmac_f32_e32 v54, 0x3f116cb1, v34
	v_mov_b32_e32 v91, v90
	v_add_f32_e32 v54, v54, v89
	v_fma_f32 v89, v35, s7, -v90
	v_mul_f32_e32 v90, 0xbf6f5d39, v31
	v_fma_f32 v92, v34, s9, -v90
	v_fmac_f32_e32 v90, 0xbeb58ec6, v34
	v_fmac_f32_e32 v91, 0x3f116cb1, v35
	v_add_f32_e32 v89, v89, v93
	v_mul_f32_e32 v93, 0xbf6f5d39, v30
	v_add_f32_e32 v90, v90, v95
	v_mul_f32_e32 v95, 0xbe750f2a, v31
	v_add_f32_e32 v91, v91, v94
	v_add_f32_e32 v92, v92, v96
	v_mov_b32_e32 v94, v93
	v_fma_f32 v93, v35, s9, -v93
	v_fma_f32 v96, v34, s15, -v95
	v_fmac_f32_e32 v95, 0xbf788fa5, v34
	v_fmac_f32_e32 v94, 0xbeb58ec6, v35
	v_add_f32_e32 v93, v93, v97
	v_mul_f32_e32 v97, 0xbe750f2a, v30
	v_add_f32_e32 v95, v95, v99
	v_mul_f32_e32 v99, 0x3f29c268, v31
	v_add_f32_e32 v94, v94, v98
	v_add_f32_e32 v96, v96, v100
	v_mov_b32_e32 v98, v97
	v_fma_f32 v97, v35, s15, -v97
	;; [unrolled: 11-line block ×3, first 2 shown]
	v_fma_f32 v104, v34, s8, -v103
	v_fmac_f32_e32 v103, 0x3df6dbef, v34
	v_mul_f32_e32 v31, 0x3eedf032, v31
	v_add_f32_e32 v101, v101, v105
	v_mul_f32_e32 v105, 0x3f7e222b, v30
	v_add_f32_e32 v103, v103, v107
	v_fma_f32 v107, v34, s6, -v31
	v_mul_f32_e32 v30, 0x3eedf032, v30
	v_fmac_f32_e32 v31, 0x3f62ad3f, v34
	v_add_f32_e32 v104, v104, v108
	v_mov_b32_e32 v108, v30
	v_add_f32_e32 v12, v31, v12
	v_fma_f32 v30, v35, s6, -v30
	v_add_f32_e32 v31, v27, v33
	v_sub_f32_e32 v27, v27, v33
	v_add_f32_e32 v13, v30, v13
	v_add_f32_e32 v30, v26, v32
	v_sub_f32_e32 v26, v26, v32
	v_mul_f32_e32 v32, 0xbf7e222b, v27
	v_fmac_f32_e32 v102, 0xbf3f9e67, v35
	v_fma_f32 v33, v30, s8, -v32
	v_fmac_f32_e32 v32, 0x3df6dbef, v30
	v_add_f32_e32 v102, v102, v106
	v_mov_b32_e32 v106, v105
	v_mul_f32_e32 v34, 0xbf7e222b, v26
	v_add_f32_e32 v32, v32, v54
	v_mul_f32_e32 v54, 0xbe750f2a, v27
	v_fmac_f32_e32 v106, 0x3df6dbef, v35
	v_fma_f32 v105, v35, s8, -v105
	v_fmac_f32_e32 v108, 0x3f62ad3f, v35
	v_add_f32_e32 v33, v33, v55
	v_mov_b32_e32 v35, v34
	v_fma_f32 v34, v31, s8, -v34
	v_fma_f32 v55, v30, s15, -v54
	v_fmac_f32_e32 v54, 0xbf788fa5, v30
	v_fmac_f32_e32 v35, 0x3df6dbef, v31
	v_add_f32_e32 v34, v34, v89
	v_mul_f32_e32 v89, 0xbe750f2a, v26
	v_add_f32_e32 v54, v54, v90
	v_mul_f32_e32 v90, 0x3f6f5d39, v27
	v_add_f32_e32 v35, v35, v91
	v_add_f32_e32 v55, v55, v92
	v_mov_b32_e32 v91, v89
	v_fma_f32 v89, v31, s15, -v89
	v_fma_f32 v92, v30, s9, -v90
	v_fmac_f32_e32 v90, 0xbeb58ec6, v30
	v_fmac_f32_e32 v91, 0xbf788fa5, v31
	v_add_f32_e32 v89, v89, v93
	v_mul_f32_e32 v93, 0x3f6f5d39, v26
	v_add_f32_e32 v90, v90, v95
	v_mul_f32_e32 v95, 0x3eedf032, v27
	v_add_f32_e32 v91, v91, v94
	;; [unrolled: 11-line block ×3, first 2 shown]
	v_add_f32_e32 v96, v96, v100
	v_mov_b32_e32 v98, v97
	v_fma_f32 v97, v31, s6, -v97
	v_fma_f32 v100, v30, s7, -v99
	v_fmac_f32_e32 v99, 0x3f116cb1, v30
	v_mul_f32_e32 v27, 0xbf29c268, v27
	v_add_f32_e32 v97, v97, v101
	v_mul_f32_e32 v101, 0xbf52af12, v26
	v_add_f32_e32 v99, v99, v103
	v_fma_f32 v103, v30, s14, -v27
	v_mul_f32_e32 v26, 0xbf29c268, v26
	v_fmac_f32_e32 v27, 0xbf3f9e67, v30
	v_add_f32_e32 v100, v100, v104
	v_mov_b32_e32 v104, v26
	v_add_f32_e32 v12, v27, v12
	v_fma_f32 v26, v31, s14, -v26
	v_add_f32_e32 v27, v25, v29
	v_sub_f32_e32 v25, v25, v29
	v_add_f32_e32 v13, v26, v13
	v_add_f32_e32 v26, v24, v28
	v_sub_f32_e32 v24, v24, v28
	v_mul_f32_e32 v28, 0xbf6f5d39, v25
	v_fmac_f32_e32 v98, 0x3f62ad3f, v31
	v_fma_f32 v29, v26, s9, -v28
	v_fmac_f32_e32 v28, 0xbeb58ec6, v26
	v_add_f32_e32 v98, v98, v102
	v_mov_b32_e32 v102, v101
	v_mul_f32_e32 v30, 0xbf6f5d39, v24
	v_add_f32_e32 v28, v28, v32
	v_mul_f32_e32 v32, 0x3f29c268, v25
	v_fmac_f32_e32 v102, 0x3f116cb1, v31
	v_fma_f32 v101, v31, s7, -v101
	v_fmac_f32_e32 v104, 0xbf3f9e67, v31
	v_add_f32_e32 v29, v29, v33
	v_mov_b32_e32 v31, v30
	v_fma_f32 v30, v27, s9, -v30
	v_fma_f32 v33, v26, s14, -v32
	v_fmac_f32_e32 v32, 0xbf3f9e67, v26
	v_fmac_f32_e32 v31, 0xbeb58ec6, v27
	v_add_f32_e32 v30, v30, v34
	v_mul_f32_e32 v34, 0x3f29c268, v24
	v_add_f32_e32 v32, v32, v54
	v_mul_f32_e32 v54, 0x3eedf032, v25
	v_add_f32_e32 v31, v31, v35
	v_add_f32_e32 v33, v33, v55
	v_mov_b32_e32 v35, v34
	v_fma_f32 v34, v27, s14, -v34
	v_fma_f32 v55, v26, s6, -v54
	v_fmac_f32_e32 v54, 0x3f62ad3f, v26
	v_fmac_f32_e32 v35, 0xbf3f9e67, v27
	v_add_f32_e32 v34, v34, v89
	v_mul_f32_e32 v89, 0x3eedf032, v24
	v_add_f32_e32 v54, v54, v90
	v_mul_f32_e32 v90, 0xbf7e222b, v25
	v_add_f32_e32 v35, v35, v91
	v_add_f32_e32 v55, v55, v92
	v_mov_b32_e32 v91, v89
	v_fma_f32 v89, v27, s6, -v89
	v_fma_f32 v92, v26, s8, -v90
	v_fmac_f32_e32 v90, 0x3df6dbef, v26
	v_fmac_f32_e32 v91, 0x3f62ad3f, v27
	v_add_f32_e32 v89, v89, v93
	v_mul_f32_e32 v93, 0xbf7e222b, v24
	v_add_f32_e32 v90, v90, v95
	v_mul_f32_e32 v95, 0x3e750f2a, v25
	v_add_f32_e32 v91, v91, v94
	v_add_f32_e32 v92, v92, v96
	v_mov_b32_e32 v94, v93
	v_fma_f32 v93, v27, s8, -v93
	v_fma_f32 v96, v26, s15, -v95
	v_fmac_f32_e32 v95, 0xbf788fa5, v26
	v_mul_f32_e32 v25, 0x3f52af12, v25
	v_add_f32_e32 v93, v93, v97
	v_mul_f32_e32 v97, 0x3e750f2a, v24
	v_add_f32_e32 v95, v95, v99
	v_fma_f32 v99, v26, s7, -v25
	v_mul_f32_e32 v24, 0x3f52af12, v24
	v_fmac_f32_e32 v25, 0x3f116cb1, v26
	v_add_f32_e32 v96, v96, v100
	v_mov_b32_e32 v100, v24
	v_add_f32_e32 v12, v25, v12
	v_fma_f32 v24, v27, s7, -v24
	v_add_f32_e32 v25, v21, v23
	v_sub_f32_e32 v21, v21, v23
	v_add_f32_e32 v13, v24, v13
	v_add_f32_e32 v24, v20, v22
	v_sub_f32_e32 v20, v20, v22
	v_mul_f32_e32 v22, 0xbf29c268, v21
	v_fmac_f32_e32 v94, 0x3df6dbef, v27
	v_fma_f32 v23, v24, s14, -v22
	v_fmac_f32_e32 v22, 0xbf3f9e67, v24
	v_add_f32_e32 v94, v94, v98
	v_mov_b32_e32 v98, v97
	v_mul_f32_e32 v26, 0xbf29c268, v20
	v_add_f32_e32 v22, v22, v28
	v_mul_f32_e32 v28, 0x3f7e222b, v21
	v_fmac_f32_e32 v98, 0xbf788fa5, v27
	v_fma_f32 v97, v27, s15, -v97
	v_fmac_f32_e32 v100, 0x3f116cb1, v27
	v_add_f32_e32 v23, v23, v29
	v_mov_b32_e32 v27, v26
	v_fma_f32 v26, v25, s14, -v26
	v_fma_f32 v29, v24, s8, -v28
	v_fmac_f32_e32 v28, 0x3df6dbef, v24
	v_fmac_f32_e32 v27, 0xbf3f9e67, v25
	v_add_f32_e32 v26, v26, v30
	v_mul_f32_e32 v30, 0x3f7e222b, v20
	v_add_f32_e32 v28, v28, v32
	v_mul_f32_e32 v32, 0xbf52af12, v21
	v_add_f32_e32 v27, v27, v31
	v_add_f32_e32 v29, v29, v33
	v_mov_b32_e32 v31, v30
	v_fma_f32 v30, v25, s8, -v30
	v_fma_f32 v33, v24, s7, -v32
	v_fmac_f32_e32 v31, 0x3df6dbef, v25
	v_add_f32_e32 v30, v30, v34
	v_add_f32_e32 v34, v33, v55
	v_mul_f32_e32 v33, 0xbf52af12, v20
	v_add_f32_e32 v31, v31, v35
	v_mov_b32_e32 v35, v33
	v_fmac_f32_e32 v35, 0x3f116cb1, v25
	v_fmac_f32_e32 v32, 0x3f116cb1, v24
	v_add_f32_e32 v35, v35, v91
	v_add_f32_e32 v91, v32, v54
	v_fma_f32 v32, v25, s7, -v33
	v_add_f32_e32 v89, v32, v89
	v_mul_f32_e32 v32, 0x3e750f2a, v21
	v_fma_f32 v33, v24, s15, -v32
	v_add_f32_e32 v92, v33, v92
	v_mul_f32_e32 v33, 0x3e750f2a, v20
	v_fmac_f32_e32 v32, 0xbf788fa5, v24
	v_add_f32_e32 v90, v32, v90
	v_fma_f32 v32, v25, s15, -v33
	v_add_f32_e32 v93, v32, v93
	v_mul_f32_e32 v32, 0x3eedf032, v21
	v_add_f32_e32 v105, v105, v109
	v_mov_b32_e32 v54, v33
	v_fma_f32 v33, v24, s6, -v32
	v_add_f32_e32 v101, v101, v105
	v_add_f32_e32 v96, v33, v96
	v_mul_f32_e32 v33, 0x3eedf032, v20
	v_fmac_f32_e32 v32, 0x3f62ad3f, v24
	v_add_f32_e32 v107, v107, v111
	v_add_f32_e32 v97, v97, v101
	;; [unrolled: 1-line block ×3, first 2 shown]
	v_fma_f32 v32, v25, s6, -v33
	v_mul_f32_e32 v21, 0xbf6f5d39, v21
	v_add_f32_e32 v106, v106, v110
	v_add_f32_e32 v103, v103, v107
	;; [unrolled: 1-line block ×3, first 2 shown]
	v_fma_f32 v32, v24, s9, -v21
	v_mul_f32_e32 v20, 0xbf6f5d39, v20
	v_fmac_f32_e32 v21, 0xbeb58ec6, v24
	v_add_f32_e32 v102, v102, v106
	v_add_f32_e32 v99, v99, v103
	v_fmac_f32_e32 v54, 0xbf788fa5, v25
	v_add_f32_e32 v101, v21, v12
	v_fma_f32 v12, v25, s9, -v20
	v_sub_f32_e32 v24, v17, v19
	v_add_f32_e32 v98, v98, v102
	v_add_f32_e32 v94, v54, v94
	v_mov_b32_e32 v54, v33
	v_add_f32_e32 v99, v32, v99
	v_mov_b32_e32 v32, v20
	v_add_f32_e32 v102, v12, v13
	v_add_f32_e32 v103, v16, v18
	v_mul_f32_e32 v12, 0xbe750f2a, v24
	v_add_f32_e32 v108, v108, v112
	v_fmac_f32_e32 v54, 0x3f62ad3f, v25
	v_fmac_f32_e32 v32, 0xbeb58ec6, v25
	v_sub_f32_e32 v25, v16, v18
	v_fma_f32 v13, v103, s15, -v12
	v_add_f32_e32 v104, v104, v108
	v_add_f32_e32 v98, v54, v98
	;; [unrolled: 1-line block ×3, first 2 shown]
	v_mul_f32_e32 v13, 0xbe750f2a, v25
	v_add_f32_e32 v100, v100, v104
	v_add_f32_e32 v104, v17, v19
	v_mov_b32_e32 v16, v13
	v_fmac_f32_e32 v16, 0xbf788fa5, v104
	v_add_f32_e32 v55, v16, v27
	v_mul_f32_e32 v16, 0x3eedf032, v24
	v_fma_f32 v17, v103, s6, -v16
	v_add_f32_e32 v100, v32, v100
	v_add_f32_e32 v32, v17, v29
	v_mul_f32_e32 v17, 0x3eedf032, v25
	v_mov_b32_e32 v18, v17
	v_fmac_f32_e32 v18, 0x3f62ad3f, v104
	v_add_f32_e32 v33, v18, v31
	v_mul_f32_e32 v18, 0xbf29c268, v24
	v_fma_f32 v19, v103, s14, -v18
	v_add_f32_e32 v34, v19, v34
	v_mul_f32_e32 v19, 0xbf29c268, v25
	v_mov_b32_e32 v20, v19
	v_fmac_f32_e32 v20, 0xbf3f9e67, v104
	v_add_f32_e32 v35, v20, v35
	v_fma_f32 v19, v104, s14, -v19
	v_mul_f32_e32 v20, 0x3f52af12, v24
	v_fmac_f32_e32 v16, 0x3f62ad3f, v103
	v_add_f32_e32 v19, v19, v89
	v_fma_f32 v21, v103, s7, -v20
	v_lshrrev_b32_e32 v89, 1, v38
	v_fmac_f32_e32 v12, 0xbf788fa5, v103
	v_add_f32_e32 v16, v16, v28
	v_add_f32_e32 v28, v21, v92
	v_mul_f32_e32 v21, 0x3f52af12, v25
	v_mul_u32_u24_e32 v89, 26, v89
	v_add_f32_e32 v12, v12, v22
	v_mov_b32_e32 v22, v21
	v_or_b32_e32 v89, v89, v87
	v_fmac_f32_e32 v22, 0x3f116cb1, v104
	v_lshl_add_u32 v89, v89, 3, 0
	v_add_f32_e32 v29, v22, v94
	v_mul_f32_e32 v22, 0xbf6f5d39, v24
	ds_write2_b64 v89, v[2:3], v[68:69] offset1:2
	ds_write2_b64 v89, v[64:65], v[66:67] offset0:4 offset1:6
	ds_write2_b64 v89, v[60:61], v[62:63] offset0:8 offset1:10
	;; [unrolled: 1-line block ×3, first 2 shown]
	v_lshrrev_b32_e32 v2, 1, v40
	v_fma_f32 v17, v104, s6, -v17
	v_fma_f32 v23, v103, s9, -v22
	v_mul_lo_u32 v2, v2, 26
	v_fma_f32 v13, v104, s15, -v13
	v_add_f32_e32 v17, v17, v30
	v_add_f32_e32 v30, v23, v96
	v_mul_f32_e32 v23, 0xbf6f5d39, v25
	v_add_f32_e32 v13, v13, v26
	v_mov_b32_e32 v26, v23
	v_fmac_f32_e32 v26, 0xbeb58ec6, v104
	v_mul_f32_e32 v27, 0x3f7e222b, v25
	v_fmac_f32_e32 v20, 0x3f116cb1, v103
	v_add_f32_e32 v31, v26, v98
	v_mul_f32_e32 v26, 0x3f7e222b, v24
	v_mov_b32_e32 v25, v27
	ds_write2_b64 v89, v[10:11], v[8:9] offset0:16 offset1:18
	ds_write2_b64 v89, v[6:7], v[4:5] offset0:20 offset1:22
	ds_write_b64 v89, v[0:1] offset:192
	v_or_b32_e32 v0, v2, v87
	v_subrev_u32_e32 v87, 26, v38
	v_fmac_f32_e32 v18, 0xbf3f9e67, v103
	v_add_f32_e32 v20, v20, v90
	v_fma_f32 v21, v104, s7, -v21
	v_fmac_f32_e32 v22, 0xbeb58ec6, v103
	v_fma_f32 v23, v104, s9, -v23
	v_fma_f32 v24, v103, s8, -v26
	v_fmac_f32_e32 v25, 0x3df6dbef, v104
	v_fmac_f32_e32 v26, 0x3df6dbef, v103
	v_fma_f32 v27, v104, s8, -v27
	v_lshl_add_u32 v0, v0, 3, 0
	v_cndmask_b32_e32 v90, v87, v38, vcc
	v_add_f32_e32 v18, v18, v91
	v_add_f32_e32 v21, v21, v93
	;; [unrolled: 1-line block ×8, first 2 shown]
	ds_write2_b64 v0, v[14:15], v[54:55] offset1:2
	ds_write2_b64 v0, v[32:33], v[34:35] offset0:4 offset1:6
	ds_write2_b64 v0, v[28:29], v[30:31] offset0:8 offset1:10
	;; [unrolled: 1-line block ×5, first 2 shown]
	ds_write_b64 v0, v[12:13] offset:192
	v_mul_i32_i24_e32 v54, 12, v90
	v_mov_b32_e32 v55, 0
	v_lshlrev_b64 v[0:1], 3, v[54:55]
	v_mov_b32_e32 v2, s13
	v_add_co_u32_e64 v4, s[2:3], s12, v0
	v_addc_co_u32_e64 v5, s[2:3], v2, v1, s[2:3]
	s_waitcnt lgkmcnt(0)
	; wave barrier
	s_waitcnt lgkmcnt(0)
	global_load_dwordx4 v[0:3], v[4:5], off offset:192
	global_load_dwordx4 v[8:11], v[4:5], off offset:208
	;; [unrolled: 1-line block ×6, first 2 shown]
	s_movk_i32 s2, 0x4f
	v_mul_lo_u16_sdwa v4, v40, s2 dst_sel:DWORD dst_unused:UNUSED_PAD src0_sel:BYTE_0 src1_sel:DWORD
	v_lshrrev_b16_e32 v89, 11, v4
	v_mul_lo_u16_e32 v4, 26, v89
	v_sub_u16_e32 v54, v40, v4
	v_mov_b32_e32 v4, 12
	v_mul_u32_u24_sdwa v4, v54, v4 dst_sel:DWORD dst_unused:UNUSED_PAD src0_sel:BYTE_0 src1_sel:DWORD
	v_lshlrev_b32_e32 v60, 3, v4
	global_load_dwordx4 v[64:67], v60, s[12:13] offset:224
	global_load_dwordx4 v[91:94], v60, s[12:13] offset:208
	;; [unrolled: 1-line block ×3, first 2 shown]
	ds_read_b64 v[4:5], v71
	ds_read_b64 v[24:25], v74
	;; [unrolled: 1-line block ×4, first 2 shown]
	ds_read2_b64 v[99:102], v39 offset0:164 offset1:216
	ds_read2_b64 v[103:106], v83 offset0:12 offset1:64
	;; [unrolled: 1-line block ×3, first 2 shown]
	global_load_dwordx4 v[111:114], v60, s[12:13] offset:192
	ds_read2_b64 v[115:118], v73 offset0:92 offset1:144
	ds_read_b64 v[26:27], v81
	ds_read2_b64 v[119:122], v84 offset0:68 offset1:120
	ds_read_b64 v[30:31], v80
	ds_read_b64 v[6:7], v82
	ds_read_b64 v[68:69], v76 offset:10400
	global_load_dwordx4 v[123:126], v60, s[12:13] offset:272
	global_load_dwordx4 v[127:130], v60, s[12:13] offset:256
	ds_read2_b64 v[131:134], v84 offset0:172 offset1:224
	v_cmp_lt_u32_e64 s[2:3], 25, v38
	s_waitcnt vmcnt(11) lgkmcnt(5)
	v_mul_f32_e32 v34, v1, v27
	v_mul_f32_e32 v88, v1, v26
	v_fma_f32 v71, v0, v26, -v34
	v_fmac_f32_e32 v88, v0, v27
	s_waitcnt lgkmcnt(3)
	v_mul_f32_e32 v0, v3, v31
	v_fma_f32 v63, v2, v30, -v0
	s_waitcnt vmcnt(10)
	v_mul_f32_e32 v0, v9, v5
	v_mul_f32_e32 v62, v3, v30
	v_fma_f32 v35, v8, v4, -v0
	v_mul_f32_e32 v0, v25, v11
	v_fmac_f32_e32 v62, v2, v31
	v_mul_f32_e32 v34, v9, v4
	v_fma_f32 v31, v24, v10, -v0
	s_waitcnt vmcnt(9)
	v_mul_f32_e32 v0, v29, v13
	s_waitcnt vmcnt(8)
	v_mul_f32_e32 v2, v102, v17
	v_fmac_f32_e32 v34, v8, v5
	v_fma_f32 v27, v28, v12, -v0
	v_mul_f32_e32 v26, v28, v13
	v_mul_f32_e32 v0, v33, v15
	v_fma_f32 v5, v101, v16, -v2
	v_mul_f32_e32 v2, v106, v19
	v_fmac_f32_e32 v26, v29, v12
	v_fma_f32 v1, v32, v14, -v0
	v_mul_f32_e32 v0, v32, v15
	v_fma_f32 v29, v105, v18, -v2
	v_mul_f32_e32 v28, v105, v19
	s_waitcnt vmcnt(7)
	v_mul_f32_e32 v2, v110, v21
	v_mul_f32_e32 v32, v109, v21
	v_fmac_f32_e32 v0, v33, v14
	v_mul_f32_e32 v4, v101, v17
	v_fmac_f32_e32 v28, v106, v18
	v_fma_f32 v33, v109, v20, -v2
	v_fmac_f32_e32 v32, v110, v20
	ds_read2_b64 v[17:20], v70 offset0:84 offset1:188
	v_mul_f32_e32 v2, v118, v23
	v_fma_f32 v61, v117, v22, -v2
	s_waitcnt vmcnt(6)
	v_mul_f32_e32 v2, v122, v57
	v_fma_f32 v101, v121, v56, -v2
	s_waitcnt lgkmcnt(1)
	v_mul_f32_e32 v2, v134, v59
	v_fmac_f32_e32 v4, v102, v16
	v_mul_f32_e32 v102, v121, v57
	v_fma_f32 v105, v133, v58, -v2
	v_mul_f32_e32 v106, v133, v59
	s_waitcnt vmcnt(5)
	v_mul_f32_e32 v2, v100, v67
	v_fmac_f32_e32 v102, v122, v56
	v_fmac_f32_e32 v106, v134, v58
	v_fma_f32 v8, v99, v66, -v2
	s_waitcnt vmcnt(4) lgkmcnt(0)
	v_mul_f32_e32 v2, v18, v94
	ds_read2_b64 v[56:59], v72 offset0:4 offset1:108
	v_mul_f32_e32 v9, v99, v67
	v_fma_f32 v16, v17, v93, -v2
	v_mul_f32_e32 v2, v20, v65
	v_mul_f32_e32 v13, v19, v65
	v_fmac_f32_e32 v9, v100, v66
	v_fma_f32 v12, v19, v64, -v2
	v_fmac_f32_e32 v13, v20, v64
	ds_read2_b64 v[64:67], v76 offset1:156
	s_waitcnt vmcnt(2) lgkmcnt(1)
	v_mul_f32_e32 v2, v57, v114
	v_mul_f32_e32 v30, v24, v11
	v_fma_f32 v24, v56, v113, -v2
	v_mul_f32_e32 v2, v59, v92
	v_fma_f32 v20, v58, v91, -v2
	s_waitcnt lgkmcnt(0)
	v_mul_f32_e32 v2, v67, v112
	v_mul_f32_e32 v21, v58, v92
	v_fma_f32 v58, v66, v111, -v2
	v_mul_f32_e32 v2, v104, v96
	v_fmac_f32_e32 v30, v25, v10
	v_fma_f32 v10, v103, v95, -v2
	v_mul_f32_e32 v2, v108, v98
	v_mul_f32_e32 v17, v17, v94
	v_fma_f32 v14, v107, v97, -v2
	s_waitcnt vmcnt(0)
	v_mul_f32_e32 v2, v116, v128
	v_mul_f32_e32 v60, v117, v23
	v_fmac_f32_e32 v17, v18, v93
	v_fma_f32 v18, v115, v127, -v2
	v_mul_f32_e32 v2, v120, v130
	v_fmac_f32_e32 v60, v118, v22
	v_fma_f32 v22, v119, v129, -v2
	v_mul_f32_e32 v2, v132, v124
	v_mul_f32_e32 v25, v56, v114
	v_fma_f32 v56, v131, v123, -v2
	v_mul_f32_e32 v2, v69, v126
	v_fma_f32 v74, v68, v125, -v2
	v_add_f32_e32 v2, v71, v64
	v_add_f32_e32 v3, v88, v65
	;; [unrolled: 1-line block ×18, first 2 shown]
	v_fmac_f32_e32 v21, v59, v91
	v_mul_f32_e32 v59, v66, v112
	v_mul_f32_e32 v11, v103, v96
	;; [unrolled: 1-line block ×4, first 2 shown]
	v_add_f32_e32 v2, v2, v61
	v_add_f32_e32 v3, v3, v60
	v_sub_f32_e32 v68, v71, v105
	v_fmac_f32_e32 v59, v67, v111
	v_fmac_f32_e32 v11, v104, v95
	;; [unrolled: 1-line block ×4, first 2 shown]
	v_add_f32_e32 v2, v2, v101
	v_add_f32_e32 v3, v3, v102
	;; [unrolled: 1-line block ×3, first 2 shown]
	v_sub_f32_e32 v69, v88, v106
	v_mul_f32_e32 v88, 0xbeedf032, v68
	v_mul_f32_e32 v94, 0xbf52af12, v68
	;; [unrolled: 1-line block ×6, first 2 shown]
	v_add_f32_e32 v2, v2, v105
	v_add_f32_e32 v3, v3, v106
	;; [unrolled: 1-line block ×3, first 2 shown]
	v_mul_f32_e32 v70, 0xbeedf032, v69
	v_mov_b32_e32 v91, v88
	v_mul_f32_e32 v92, 0xbf52af12, v69
	v_mov_b32_e32 v95, v94
	;; [unrolled: 2-line block ×6, first 2 shown]
	v_fma_f32 v71, v66, s6, -v70
	v_fmac_f32_e32 v91, 0x3f62ad3f, v67
	v_fmac_f32_e32 v70, 0x3f62ad3f, v66
	v_fma_f32 v88, v67, s6, -v88
	v_fma_f32 v93, v66, s7, -v92
	v_fmac_f32_e32 v95, 0x3f116cb1, v67
	v_fmac_f32_e32 v92, 0x3f116cb1, v66
	v_fma_f32 v94, v67, s7, -v94
	;; [unrolled: 4-line block ×6, first 2 shown]
	v_add_f32_e32 v67, v62, v102
	v_sub_f32_e32 v62, v62, v102
	v_add_f32_e32 v91, v91, v65
	v_add_f32_e32 v88, v88, v65
	v_add_f32_e32 v95, v95, v65
	v_add_f32_e32 v94, v94, v65
	v_add_f32_e32 v99, v99, v65
	v_add_f32_e32 v98, v98, v65
	v_add_f32_e32 v105, v105, v65
	v_add_f32_e32 v104, v104, v65
	v_add_f32_e32 v109, v109, v65
	v_add_f32_e32 v108, v108, v65
	v_add_f32_e32 v111, v111, v65
	v_add_f32_e32 v65, v66, v65
	v_add_f32_e32 v66, v63, v101
	v_mul_f32_e32 v68, 0xbf52af12, v62
	v_add_f32_e32 v71, v71, v64
	v_add_f32_e32 v70, v70, v64
	;; [unrolled: 1-line block ×12, first 2 shown]
	v_sub_f32_e32 v63, v63, v101
	v_fma_f32 v69, v66, s7, -v68
	v_add_f32_e32 v69, v69, v71
	v_mul_f32_e32 v71, 0xbf52af12, v63
	v_fmac_f32_e32 v68, 0x3f116cb1, v66
	v_mov_b32_e32 v101, v71
	v_add_f32_e32 v68, v68, v70
	v_fma_f32 v70, v67, s7, -v71
	v_mul_f32_e32 v71, 0xbf6f5d39, v62
	v_add_f32_e32 v70, v70, v88
	v_fma_f32 v88, v66, s9, -v71
	v_fmac_f32_e32 v101, 0x3f116cb1, v67
	v_add_f32_e32 v88, v88, v93
	v_mul_f32_e32 v93, 0xbf6f5d39, v63
	v_fmac_f32_e32 v71, 0xbeb58ec6, v66
	v_add_f32_e32 v91, v101, v91
	v_mov_b32_e32 v101, v93
	v_add_f32_e32 v71, v71, v92
	v_fma_f32 v92, v67, s9, -v93
	v_mul_f32_e32 v93, 0xbe750f2a, v62
	v_add_f32_e32 v92, v92, v94
	v_fma_f32 v94, v66, s15, -v93
	v_fmac_f32_e32 v101, 0xbeb58ec6, v67
	v_add_f32_e32 v94, v94, v97
	v_mul_f32_e32 v97, 0xbe750f2a, v63
	v_add_f32_e32 v95, v101, v95
	v_mov_b32_e32 v101, v97
	v_fmac_f32_e32 v93, 0xbf788fa5, v66
	v_fmac_f32_e32 v101, 0xbf788fa5, v67
	v_add_f32_e32 v93, v93, v96
	v_fma_f32 v96, v67, s15, -v97
	v_mul_f32_e32 v97, 0x3f29c268, v62
	v_add_f32_e32 v99, v101, v99
	v_add_f32_e32 v96, v96, v98
	v_fma_f32 v98, v66, s14, -v97
	v_mul_f32_e32 v101, 0x3f29c268, v63
	v_fmac_f32_e32 v97, 0xbf3f9e67, v66
	v_mov_b32_e32 v102, v101
	v_add_f32_e32 v97, v97, v100
	v_fma_f32 v100, v67, s14, -v101
	v_mul_f32_e32 v101, 0x3f7e222b, v62
	v_add_f32_e32 v98, v98, v103
	v_add_f32_e32 v100, v100, v104
	v_fma_f32 v103, v66, s8, -v101
	v_mul_f32_e32 v104, 0x3f7e222b, v63
	v_mul_f32_e32 v63, 0x3eedf032, v63
	v_add_f32_e32 v103, v103, v107
	v_fmac_f32_e32 v101, 0x3df6dbef, v66
	v_mul_f32_e32 v62, 0x3eedf032, v62
	v_mov_b32_e32 v107, v63
	v_fma_f32 v63, v67, s6, -v63
	v_add_f32_e32 v101, v101, v106
	v_fma_f32 v106, v66, s6, -v62
	v_fmac_f32_e32 v62, 0x3f62ad3f, v66
	v_add_f32_e32 v63, v63, v65
	v_add_f32_e32 v65, v34, v60
	v_sub_f32_e32 v34, v34, v60
	v_fmac_f32_e32 v102, 0xbf3f9e67, v67
	v_add_f32_e32 v62, v62, v64
	v_add_f32_e32 v64, v35, v61
	v_sub_f32_e32 v35, v35, v61
	v_mul_f32_e32 v60, 0xbf7e222b, v34
	v_add_f32_e32 v102, v102, v105
	v_mov_b32_e32 v105, v104
	v_fma_f32 v61, v64, s8, -v60
	v_mul_f32_e32 v66, 0xbf7e222b, v35
	v_fmac_f32_e32 v60, 0x3df6dbef, v64
	v_fmac_f32_e32 v105, 0x3df6dbef, v67
	v_fma_f32 v104, v67, s8, -v104
	v_fmac_f32_e32 v107, 0x3f62ad3f, v67
	v_mov_b32_e32 v67, v66
	v_add_f32_e32 v60, v60, v68
	v_fma_f32 v66, v65, s8, -v66
	v_mul_f32_e32 v68, 0xbe750f2a, v34
	v_add_f32_e32 v61, v61, v69
	v_add_f32_e32 v66, v66, v70
	v_fma_f32 v69, v64, s15, -v68
	v_mul_f32_e32 v70, 0xbe750f2a, v35
	v_fmac_f32_e32 v68, 0xbf788fa5, v64
	v_fmac_f32_e32 v67, 0x3df6dbef, v65
	v_add_f32_e32 v69, v69, v88
	v_mov_b32_e32 v88, v70
	v_add_f32_e32 v68, v68, v71
	v_fma_f32 v70, v65, s15, -v70
	v_mul_f32_e32 v71, 0x3f6f5d39, v34
	v_add_f32_e32 v67, v67, v91
	v_add_f32_e32 v70, v70, v92
	v_fma_f32 v91, v64, s9, -v71
	v_mul_f32_e32 v92, 0x3f6f5d39, v35
	v_fmac_f32_e32 v71, 0xbeb58ec6, v64
	v_fmac_f32_e32 v88, 0xbf788fa5, v65
	v_add_f32_e32 v91, v91, v94
	;; [unrolled: 11-line block ×3, first 2 shown]
	v_mov_b32_e32 v98, v96
	v_add_f32_e32 v93, v93, v97
	v_fma_f32 v96, v65, s6, -v96
	v_mul_f32_e32 v97, 0xbf52af12, v34
	v_add_f32_e32 v94, v94, v99
	v_add_f32_e32 v96, v96, v100
	v_fma_f32 v99, v64, s7, -v97
	v_mul_f32_e32 v100, 0xbf52af12, v35
	v_mul_f32_e32 v35, 0xbf29c268, v35
	v_add_f32_e32 v99, v99, v103
	v_fmac_f32_e32 v97, 0x3f116cb1, v64
	v_mul_f32_e32 v34, 0xbf29c268, v34
	v_mov_b32_e32 v103, v35
	v_fma_f32 v35, v65, s14, -v35
	v_add_f32_e32 v97, v97, v101
	v_fma_f32 v101, v64, s14, -v34
	v_fmac_f32_e32 v34, 0xbf3f9e67, v64
	v_add_f32_e32 v35, v35, v63
	v_add_f32_e32 v63, v30, v32
	v_sub_f32_e32 v30, v30, v32
	v_add_f32_e32 v34, v34, v62
	v_add_f32_e32 v62, v31, v33
	v_mul_f32_e32 v32, 0xbf6f5d39, v30
	v_sub_f32_e32 v31, v31, v33
	v_fma_f32 v33, v62, s9, -v32
	v_fmac_f32_e32 v98, 0x3f62ad3f, v65
	v_add_f32_e32 v33, v33, v61
	v_mul_f32_e32 v61, 0xbf6f5d39, v31
	v_fmac_f32_e32 v32, 0xbeb58ec6, v62
	v_add_f32_e32 v98, v98, v102
	v_mov_b32_e32 v102, v100
	v_mov_b32_e32 v64, v61
	v_add_f32_e32 v32, v32, v60
	v_fma_f32 v60, v63, s9, -v61
	v_mul_f32_e32 v61, 0x3f29c268, v30
	v_fmac_f32_e32 v102, 0x3f116cb1, v65
	v_fma_f32 v100, v65, s7, -v100
	v_fmac_f32_e32 v103, 0xbf3f9e67, v65
	v_fmac_f32_e32 v64, 0xbeb58ec6, v63
	v_add_f32_e32 v60, v60, v66
	v_fma_f32 v65, v62, s14, -v61
	v_mul_f32_e32 v66, 0x3f29c268, v31
	v_fmac_f32_e32 v61, 0xbf3f9e67, v62
	v_add_f32_e32 v64, v64, v67
	v_mov_b32_e32 v67, v66
	v_add_f32_e32 v61, v61, v68
	v_fma_f32 v66, v63, s14, -v66
	v_mul_f32_e32 v68, 0x3eedf032, v30
	v_add_f32_e32 v65, v65, v69
	v_fmac_f32_e32 v67, 0xbf3f9e67, v63
	v_add_f32_e32 v66, v66, v70
	v_fma_f32 v69, v62, s6, -v68
	v_mul_f32_e32 v70, 0x3eedf032, v31
	v_fmac_f32_e32 v68, 0x3f62ad3f, v62
	v_add_f32_e32 v67, v67, v88
	v_mov_b32_e32 v88, v70
	v_add_f32_e32 v68, v68, v71
	v_fma_f32 v70, v63, s6, -v70
	v_mul_f32_e32 v71, 0xbf7e222b, v30
	v_add_f32_e32 v69, v69, v91
	;; [unrolled: 11-line block ×3, first 2 shown]
	v_add_f32_e32 v92, v92, v96
	v_fma_f32 v95, v62, s15, -v93
	v_mul_f32_e32 v96, 0x3e750f2a, v31
	v_mul_f32_e32 v31, 0x3f52af12, v31
	v_add_f32_e32 v95, v95, v99
	v_fmac_f32_e32 v93, 0xbf788fa5, v62
	v_mul_f32_e32 v30, 0x3f52af12, v30
	v_mov_b32_e32 v99, v31
	v_fma_f32 v31, v63, s7, -v31
	v_add_f32_e32 v93, v93, v97
	v_fma_f32 v97, v62, s7, -v30
	v_fmac_f32_e32 v30, 0x3f116cb1, v62
	v_add_f32_e32 v31, v31, v35
	v_add_f32_e32 v35, v26, v28
	v_sub_f32_e32 v26, v26, v28
	v_add_f32_e32 v30, v30, v34
	v_add_f32_e32 v34, v27, v29
	v_mul_f32_e32 v28, 0xbf29c268, v26
	v_sub_f32_e32 v27, v27, v29
	v_fma_f32 v29, v34, s14, -v28
	v_add_f32_e32 v29, v29, v33
	v_mul_f32_e32 v33, 0xbf29c268, v27
	v_fmac_f32_e32 v28, 0xbf3f9e67, v34
	v_fmac_f32_e32 v94, 0x3df6dbef, v63
	v_add_f32_e32 v32, v28, v32
	v_fma_f32 v28, v35, s14, -v33
	v_add_f32_e32 v94, v94, v98
	v_mov_b32_e32 v98, v96
	v_mov_b32_e32 v62, v33
	v_add_f32_e32 v33, v28, v60
	v_mul_f32_e32 v28, 0x3f7e222b, v26
	v_fmac_f32_e32 v98, 0xbf788fa5, v63
	v_fma_f32 v96, v63, s15, -v96
	v_fmac_f32_e32 v99, 0x3f116cb1, v63
	v_fma_f32 v60, v34, s8, -v28
	v_mul_f32_e32 v63, 0x3f7e222b, v27
	v_fmac_f32_e32 v28, 0x3df6dbef, v34
	v_fmac_f32_e32 v62, 0xbf3f9e67, v35
	v_add_f32_e32 v61, v28, v61
	v_fma_f32 v28, v35, s8, -v63
	v_add_f32_e32 v62, v62, v64
	v_mov_b32_e32 v64, v63
	v_add_f32_e32 v63, v28, v66
	v_mul_f32_e32 v28, 0xbf52af12, v26
	v_add_f32_e32 v60, v60, v65
	v_fma_f32 v65, v34, s7, -v28
	v_mul_f32_e32 v66, 0xbf52af12, v27
	v_fmac_f32_e32 v28, 0x3f116cb1, v34
	v_fmac_f32_e32 v64, 0x3df6dbef, v35
	v_add_f32_e32 v68, v28, v68
	v_fma_f32 v28, v35, s7, -v66
	v_add_f32_e32 v64, v64, v67
	v_mov_b32_e32 v67, v66
	v_add_f32_e32 v66, v28, v70
	v_mul_f32_e32 v28, 0x3e750f2a, v26
	v_add_f32_e32 v65, v65, v69
	v_fma_f32 v69, v34, s15, -v28
	v_mul_f32_e32 v70, 0x3e750f2a, v27
	v_fmac_f32_e32 v28, 0xbf788fa5, v34
	v_fmac_f32_e32 v67, 0x3f116cb1, v35
	v_add_f32_e32 v71, v28, v71
	v_fma_f32 v28, v35, s15, -v70
	v_add_f32_e32 v104, v104, v108
	v_add_f32_e32 v67, v67, v88
	v_mov_b32_e32 v88, v70
	v_add_f32_e32 v70, v28, v92
	v_mul_f32_e32 v28, 0x3eedf032, v26
	v_add_f32_e32 v106, v106, v110
	v_add_f32_e32 v100, v100, v104
	;; [unrolled: 1-line block ×3, first 2 shown]
	v_fma_f32 v91, v34, s6, -v28
	v_mul_f32_e32 v92, 0x3eedf032, v27
	v_fmac_f32_e32 v28, 0x3f62ad3f, v34
	v_add_f32_e32 v101, v101, v106
	v_add_f32_e32 v96, v96, v100
	v_fmac_f32_e32 v88, 0xbf788fa5, v35
	v_add_f32_e32 v93, v28, v93
	v_fma_f32 v28, v35, s6, -v92
	v_mul_f32_e32 v26, 0xbf6f5d39, v26
	v_add_f32_e32 v107, v107, v111
	v_add_f32_e32 v97, v97, v101
	v_add_f32_e32 v88, v88, v94
	v_mov_b32_e32 v94, v92
	v_add_f32_e32 v92, v28, v96
	v_fma_f32 v28, v34, s9, -v26
	v_mul_f32_e32 v27, 0xbf6f5d39, v27
	v_add_f32_e32 v103, v103, v107
	v_add_f32_e32 v91, v91, v95
	;; [unrolled: 1-line block ×3, first 2 shown]
	v_mov_b32_e32 v28, v27
	v_add_f32_e32 v99, v99, v103
	v_fmac_f32_e32 v28, 0xbeb58ec6, v35
	v_add_f32_e32 v100, v0, v4
	v_sub_f32_e32 v4, v0, v4
	v_add_f32_e32 v105, v105, v109
	v_add_f32_e32 v96, v28, v99
	;; [unrolled: 1-line block ×3, first 2 shown]
	v_mul_f32_e32 v0, 0xbe750f2a, v4
	v_add_f32_e32 v102, v102, v105
	v_fmac_f32_e32 v26, 0xbeb58ec6, v34
	v_sub_f32_e32 v5, v1, v5
	v_fma_f32 v1, v99, s15, -v0
	v_add_f32_e32 v98, v98, v102
	v_fmac_f32_e32 v94, 0x3f62ad3f, v35
	v_add_f32_e32 v97, v26, v30
	v_fma_f32 v26, v35, s9, -v27
	v_add_f32_e32 v28, v1, v29
	v_mul_f32_e32 v1, 0xbe750f2a, v5
	v_add_f32_e32 v94, v94, v98
	v_add_f32_e32 v98, v26, v31
	v_mov_b32_e32 v26, v1
	v_fmac_f32_e32 v26, 0xbf788fa5, v100
	v_fmac_f32_e32 v0, 0xbf788fa5, v99
	v_add_f32_e32 v29, v26, v62
	v_add_f32_e32 v0, v0, v32
	v_fma_f32 v1, v100, s15, -v1
	v_mul_f32_e32 v26, 0x3eedf032, v4
	v_mul_f32_e32 v32, 0xbf29c268, v4
	v_add_f32_e32 v1, v1, v33
	v_fma_f32 v27, v99, s6, -v26
	v_fma_f32 v33, v99, s14, -v32
	v_add_f32_e32 v30, v27, v60
	v_mul_f32_e32 v27, 0x3eedf032, v5
	v_add_f32_e32 v34, v33, v65
	v_mul_f32_e32 v33, 0xbf29c268, v5
	v_mov_b32_e32 v31, v27
	v_fma_f32 v27, v100, s6, -v27
	v_mov_b32_e32 v35, v33
	v_fma_f32 v33, v100, s14, -v33
	v_fmac_f32_e32 v26, 0x3f62ad3f, v99
	v_add_f32_e32 v27, v27, v63
	v_fmac_f32_e32 v35, 0xbf3f9e67, v100
	v_fmac_f32_e32 v32, 0xbf3f9e67, v99
	v_add_f32_e32 v33, v33, v66
	v_mul_f32_e32 v62, 0x3f52af12, v4
	v_mul_f32_e32 v63, 0x3f52af12, v5
	;; [unrolled: 1-line block ×4, first 2 shown]
	v_add_f32_e32 v26, v26, v61
	v_add_f32_e32 v35, v35, v67
	;; [unrolled: 1-line block ×3, first 2 shown]
	v_mov_b32_e32 v61, v63
	v_fma_f32 v63, v100, s7, -v63
	v_mul_f32_e32 v67, 0xbf6f5d39, v5
	v_fma_f32 v68, v99, s8, -v4
	v_mul_f32_e32 v5, 0x3f7e222b, v5
	v_fmac_f32_e32 v4, 0x3df6dbef, v99
	v_fma_f32 v60, v99, s7, -v62
	v_fmac_f32_e32 v62, 0x3f116cb1, v99
	v_add_f32_e32 v63, v63, v70
	v_add_f32_e32 v70, v4, v97
	v_fma_f32 v4, v100, s8, -v5
	v_add_f32_e32 v62, v62, v71
	v_add_f32_e32 v71, v4, v98
	;; [unrolled: 1-line block ×3, first 2 shown]
	v_fmac_f32_e32 v25, v57, v113
	v_add_f32_e32 v60, v60, v69
	v_mov_b32_e32 v69, v5
	v_add_f32_e32 v5, v59, v7
	v_add_f32_e32 v4, v4, v24
	;; [unrolled: 1-line block ×12, first 2 shown]
	v_mul_f32_e32 v19, v115, v128
	v_add_f32_e32 v5, v5, v11
	v_add_f32_e32 v4, v4, v14
	v_fmac_f32_e32 v19, v116, v127
	v_mul_f32_e32 v23, v119, v130
	v_fmac_f32_e32 v31, 0x3f62ad3f, v100
	v_add_f32_e32 v5, v5, v15
	v_add_f32_e32 v4, v4, v18
	v_fmac_f32_e32 v23, v120, v129
	v_mul_f32_e32 v57, v131, v124
	v_add_f32_e32 v31, v31, v64
	v_fmac_f32_e32 v61, 0x3f116cb1, v100
	v_fma_f32 v64, v99, s9, -v66
	v_mov_b32_e32 v65, v67
	v_add_f32_e32 v5, v5, v19
	v_add_f32_e32 v4, v4, v22
	v_fmac_f32_e32 v57, v132, v123
	v_add_f32_e32 v61, v61, v88
	v_add_f32_e32 v64, v64, v91
	v_fmac_f32_e32 v65, 0xbeb58ec6, v100
	v_fma_f32 v67, v100, s9, -v67
	v_fmac_f32_e32 v69, 0x3df6dbef, v100
	v_add_f32_e32 v5, v5, v23
	v_add_f32_e32 v4, v4, v56
	;; [unrolled: 1-line block ×4, first 2 shown]
	v_sub_f32_e32 v58, v58, v74
	v_sub_f32_e32 v59, v59, v75
	v_add_f32_e32 v65, v65, v94
	v_fmac_f32_e32 v66, 0xbeb58ec6, v99
	v_add_f32_e32 v67, v67, v92
	v_add_f32_e32 v69, v69, v96
	;; [unrolled: 1-line block ×4, first 2 shown]
	v_mul_f32_e32 v74, 0xbeedf032, v59
	v_mul_f32_e32 v92, 0xbeedf032, v58
	;; [unrolled: 1-line block ×12, first 2 shown]
	v_add_f32_e32 v66, v66, v93
	v_add_f32_e32 v68, v68, v95
	v_add_f32_e32 v5, v5, v75
	v_fma_f32 v75, v88, s6, -v74
	v_mov_b32_e32 v93, v92
	v_fmac_f32_e32 v74, 0x3f62ad3f, v88
	v_fma_f32 v95, v88, s7, -v94
	v_mov_b32_e32 v97, v96
	v_fmac_f32_e32 v94, 0x3f116cb1, v88
	;; [unrolled: 3-line block ×6, first 2 shown]
	v_add_f32_e32 v75, v75, v6
	v_fmac_f32_e32 v93, 0x3f62ad3f, v91
	v_add_f32_e32 v74, v74, v6
	v_fma_f32 v92, v91, s6, -v92
	v_add_f32_e32 v95, v95, v6
	v_fmac_f32_e32 v97, 0x3f116cb1, v91
	v_add_f32_e32 v94, v94, v6
	v_fma_f32 v96, v91, s7, -v96
	;; [unrolled: 4-line block ×6, first 2 shown]
	v_add_f32_e32 v59, v25, v57
	v_sub_f32_e32 v25, v25, v57
	v_add_f32_e32 v93, v93, v7
	v_add_f32_e32 v92, v92, v7
	;; [unrolled: 1-line block ×13, first 2 shown]
	v_sub_f32_e32 v24, v24, v56
	v_mul_f32_e32 v56, 0xbf52af12, v25
	v_fma_f32 v57, v58, s7, -v56
	v_add_f32_e32 v57, v57, v75
	v_mul_f32_e32 v75, 0xbf52af12, v24
	v_fmac_f32_e32 v56, 0x3f116cb1, v58
	v_mov_b32_e32 v88, v75
	v_add_f32_e32 v56, v56, v74
	v_fma_f32 v74, v59, s7, -v75
	v_mul_f32_e32 v75, 0xbf6f5d39, v25
	v_fma_f32 v91, v58, s9, -v75
	v_fmac_f32_e32 v75, 0xbeb58ec6, v58
	v_fmac_f32_e32 v88, 0x3f116cb1, v59
	v_add_f32_e32 v74, v74, v92
	v_mul_f32_e32 v92, 0xbf6f5d39, v24
	v_add_f32_e32 v75, v75, v94
	v_mul_f32_e32 v94, 0xbe750f2a, v25
	v_add_f32_e32 v88, v88, v93
	v_add_f32_e32 v91, v91, v95
	v_mov_b32_e32 v93, v92
	v_fma_f32 v92, v59, s9, -v92
	v_fma_f32 v95, v58, s15, -v94
	v_fmac_f32_e32 v94, 0xbf788fa5, v58
	v_fmac_f32_e32 v93, 0xbeb58ec6, v59
	v_add_f32_e32 v92, v92, v96
	v_mul_f32_e32 v96, 0xbe750f2a, v24
	v_add_f32_e32 v94, v94, v98
	v_mul_f32_e32 v98, 0x3f29c268, v25
	v_add_f32_e32 v93, v93, v97
	v_add_f32_e32 v95, v95, v99
	v_mov_b32_e32 v97, v96
	v_fma_f32 v96, v59, s15, -v96
	;; [unrolled: 11-line block ×3, first 2 shown]
	v_fma_f32 v103, v58, s8, -v102
	v_fmac_f32_e32 v102, 0x3df6dbef, v58
	v_mul_f32_e32 v25, 0x3eedf032, v25
	v_add_f32_e32 v100, v100, v104
	v_mul_f32_e32 v104, 0x3f7e222b, v24
	v_add_f32_e32 v102, v102, v106
	v_fma_f32 v106, v58, s6, -v25
	v_mul_f32_e32 v24, 0x3eedf032, v24
	v_fmac_f32_e32 v25, 0x3f62ad3f, v58
	v_add_f32_e32 v103, v103, v107
	v_mov_b32_e32 v107, v24
	v_add_f32_e32 v6, v25, v6
	v_fma_f32 v24, v59, s6, -v24
	v_add_f32_e32 v25, v21, v23
	v_sub_f32_e32 v21, v21, v23
	v_add_f32_e32 v7, v24, v7
	v_add_f32_e32 v24, v20, v22
	v_sub_f32_e32 v20, v20, v22
	v_mul_f32_e32 v22, 0xbf7e222b, v21
	v_fma_f32 v23, v24, s8, -v22
	v_fmac_f32_e32 v101, 0xbf3f9e67, v59
	v_add_f32_e32 v23, v23, v57
	v_mul_f32_e32 v57, 0xbf7e222b, v20
	v_fmac_f32_e32 v22, 0x3df6dbef, v24
	v_add_f32_e32 v101, v101, v105
	v_mov_b32_e32 v105, v104
	v_mov_b32_e32 v58, v57
	v_add_f32_e32 v22, v22, v56
	v_fma_f32 v56, v25, s8, -v57
	v_mul_f32_e32 v57, 0xbe750f2a, v21
	v_fmac_f32_e32 v105, 0x3df6dbef, v59
	v_fma_f32 v104, v59, s8, -v104
	v_fmac_f32_e32 v107, 0x3f62ad3f, v59
	v_fma_f32 v59, v24, s15, -v57
	v_fmac_f32_e32 v57, 0xbf788fa5, v24
	v_fmac_f32_e32 v58, 0x3df6dbef, v25
	v_add_f32_e32 v56, v56, v74
	v_mul_f32_e32 v74, 0xbe750f2a, v20
	v_add_f32_e32 v57, v57, v75
	v_mul_f32_e32 v75, 0x3f6f5d39, v21
	v_add_f32_e32 v58, v58, v88
	v_add_f32_e32 v59, v59, v91
	v_mov_b32_e32 v88, v74
	v_fma_f32 v74, v25, s15, -v74
	v_fma_f32 v91, v24, s9, -v75
	v_fmac_f32_e32 v75, 0xbeb58ec6, v24
	v_fmac_f32_e32 v88, 0xbf788fa5, v25
	v_add_f32_e32 v74, v74, v92
	v_mul_f32_e32 v92, 0x3f6f5d39, v20
	v_add_f32_e32 v75, v75, v94
	v_mul_f32_e32 v94, 0x3eedf032, v21
	v_add_f32_e32 v88, v88, v93
	v_add_f32_e32 v91, v91, v95
	v_mov_b32_e32 v93, v92
	v_fma_f32 v92, v25, s9, -v92
	;; [unrolled: 11-line block ×3, first 2 shown]
	v_fma_f32 v99, v24, s7, -v98
	v_fmac_f32_e32 v98, 0x3f116cb1, v24
	v_mul_f32_e32 v21, 0xbf29c268, v21
	v_add_f32_e32 v96, v96, v100
	v_mul_f32_e32 v100, 0xbf52af12, v20
	v_add_f32_e32 v98, v98, v102
	v_fma_f32 v102, v24, s14, -v21
	v_mul_f32_e32 v20, 0xbf29c268, v20
	v_fmac_f32_e32 v21, 0xbf3f9e67, v24
	v_add_f32_e32 v99, v99, v103
	v_mov_b32_e32 v103, v20
	v_add_f32_e32 v6, v21, v6
	v_fma_f32 v20, v25, s14, -v20
	v_add_f32_e32 v21, v17, v19
	v_sub_f32_e32 v17, v17, v19
	v_add_f32_e32 v7, v20, v7
	v_add_f32_e32 v20, v16, v18
	v_sub_f32_e32 v16, v16, v18
	v_mul_f32_e32 v18, 0xbf6f5d39, v17
	v_fma_f32 v19, v20, s9, -v18
	v_fmac_f32_e32 v97, 0x3f62ad3f, v25
	v_add_f32_e32 v19, v19, v23
	v_mul_f32_e32 v23, 0xbf6f5d39, v16
	v_fmac_f32_e32 v18, 0xbeb58ec6, v20
	v_add_f32_e32 v97, v97, v101
	v_mov_b32_e32 v101, v100
	v_mov_b32_e32 v24, v23
	v_add_f32_e32 v18, v18, v22
	v_fma_f32 v22, v21, s9, -v23
	v_mul_f32_e32 v23, 0x3f29c268, v17
	v_fmac_f32_e32 v101, 0x3f116cb1, v25
	v_fma_f32 v100, v25, s7, -v100
	v_fmac_f32_e32 v103, 0xbf3f9e67, v25
	v_fma_f32 v25, v20, s14, -v23
	v_fmac_f32_e32 v23, 0xbf3f9e67, v20
	v_fmac_f32_e32 v24, 0xbeb58ec6, v21
	v_add_f32_e32 v22, v22, v56
	v_mul_f32_e32 v56, 0x3f29c268, v16
	v_add_f32_e32 v23, v23, v57
	v_mul_f32_e32 v57, 0x3eedf032, v17
	v_add_f32_e32 v24, v24, v58
	v_add_f32_e32 v25, v25, v59
	v_mov_b32_e32 v58, v56
	v_fma_f32 v56, v21, s14, -v56
	v_fma_f32 v59, v20, s6, -v57
	v_fmac_f32_e32 v57, 0x3f62ad3f, v20
	v_fmac_f32_e32 v58, 0xbf3f9e67, v21
	v_add_f32_e32 v56, v56, v74
	v_mul_f32_e32 v74, 0x3eedf032, v16
	v_add_f32_e32 v57, v57, v75
	v_mul_f32_e32 v75, 0xbf7e222b, v17
	v_add_f32_e32 v58, v58, v88
	v_add_f32_e32 v59, v59, v91
	v_mov_b32_e32 v88, v74
	v_fma_f32 v74, v21, s6, -v74
	;; [unrolled: 11-line block ×3, first 2 shown]
	v_fma_f32 v95, v20, s15, -v94
	v_fmac_f32_e32 v94, 0xbf788fa5, v20
	v_mul_f32_e32 v17, 0x3f52af12, v17
	v_add_f32_e32 v92, v92, v96
	v_mul_f32_e32 v96, 0x3e750f2a, v16
	v_add_f32_e32 v94, v94, v98
	v_fma_f32 v98, v20, s7, -v17
	v_mul_f32_e32 v16, 0x3f52af12, v16
	v_fmac_f32_e32 v17, 0x3f116cb1, v20
	v_add_f32_e32 v95, v95, v99
	v_mov_b32_e32 v99, v16
	v_add_f32_e32 v6, v17, v6
	v_fma_f32 v16, v21, s7, -v16
	v_add_f32_e32 v17, v13, v15
	v_sub_f32_e32 v13, v13, v15
	v_add_f32_e32 v7, v16, v7
	v_add_f32_e32 v16, v12, v14
	v_sub_f32_e32 v12, v12, v14
	v_mul_f32_e32 v14, 0xbf29c268, v13
	v_fma_f32 v15, v16, s14, -v14
	v_add_f32_e32 v15, v15, v19
	v_mul_f32_e32 v19, 0xbf29c268, v12
	v_fmac_f32_e32 v14, 0xbf3f9e67, v16
	v_fmac_f32_e32 v93, 0x3df6dbef, v21
	v_mov_b32_e32 v20, v19
	v_add_f32_e32 v14, v14, v18
	v_fma_f32 v18, v17, s14, -v19
	v_add_f32_e32 v93, v93, v97
	v_mov_b32_e32 v97, v96
	v_fmac_f32_e32 v20, 0xbf3f9e67, v17
	v_add_f32_e32 v18, v18, v22
	v_mul_f32_e32 v19, 0x3f7e222b, v13
	v_mul_f32_e32 v22, 0x3f7e222b, v12
	v_fmac_f32_e32 v97, 0xbf788fa5, v21
	v_fma_f32 v96, v21, s15, -v96
	v_fmac_f32_e32 v99, 0x3f116cb1, v21
	v_add_f32_e32 v20, v20, v24
	v_fma_f32 v21, v16, s8, -v19
	v_mov_b32_e32 v24, v22
	v_fmac_f32_e32 v19, 0x3df6dbef, v16
	v_add_f32_e32 v104, v104, v108
	v_fmac_f32_e32 v24, 0x3df6dbef, v17
	v_add_f32_e32 v19, v19, v23
	v_mul_f32_e32 v23, 0xbf52af12, v13
	v_add_f32_e32 v105, v105, v109
	v_add_f32_e32 v100, v100, v104
	;; [unrolled: 1-line block ×3, first 2 shown]
	v_fma_f32 v24, v16, s7, -v23
	v_add_f32_e32 v101, v101, v105
	v_add_f32_e32 v96, v96, v100
	;; [unrolled: 1-line block ×3, first 2 shown]
	v_mul_f32_e32 v24, 0xbf52af12, v12
	v_fmac_f32_e32 v23, 0x3f116cb1, v16
	v_add_f32_e32 v97, v97, v101
	v_add_f32_e32 v101, v23, v57
	v_fma_f32 v23, v17, s7, -v24
	v_add_f32_e32 v74, v23, v74
	v_mul_f32_e32 v23, 0x3e750f2a, v13
	v_add_f32_e32 v21, v21, v25
	v_mov_b32_e32 v25, v24
	v_fma_f32 v24, v16, s15, -v23
	v_add_f32_e32 v91, v24, v91
	v_mul_f32_e32 v24, 0x3e750f2a, v12
	v_fmac_f32_e32 v23, 0xbf788fa5, v16
	v_add_f32_e32 v75, v23, v75
	v_fma_f32 v23, v17, s15, -v24
	v_fmac_f32_e32 v25, 0x3f116cb1, v17
	v_add_f32_e32 v92, v23, v92
	v_mul_f32_e32 v23, 0x3eedf032, v13
	v_add_f32_e32 v88, v25, v88
	v_mov_b32_e32 v25, v24
	v_fma_f32 v24, v16, s6, -v23
	v_add_f32_e32 v106, v106, v110
	v_add_f32_e32 v95, v24, v95
	v_mul_f32_e32 v24, 0x3eedf032, v12
	v_fmac_f32_e32 v23, 0x3f62ad3f, v16
	v_add_f32_e32 v102, v102, v106
	v_add_f32_e32 v94, v23, v94
	v_fma_f32 v23, v17, s6, -v24
	v_mul_f32_e32 v13, 0xbf6f5d39, v13
	v_add_f32_e32 v107, v107, v111
	v_add_f32_e32 v98, v98, v102
	;; [unrolled: 1-line block ×3, first 2 shown]
	v_fma_f32 v23, v16, s9, -v13
	v_mul_f32_e32 v12, 0xbf6f5d39, v12
	v_fmac_f32_e32 v13, 0xbeb58ec6, v16
	v_add_f32_e32 v103, v103, v107
	v_add_f32_e32 v98, v23, v98
	v_mov_b32_e32 v23, v12
	v_add_f32_e32 v102, v13, v6
	v_fma_f32 v6, v17, s9, -v12
	v_sub_f32_e32 v12, v9, v11
	v_add_f32_e32 v99, v99, v103
	v_add_f32_e32 v103, v6, v7
	;; [unrolled: 1-line block ×3, first 2 shown]
	v_mul_f32_e32 v6, 0xbe750f2a, v12
	v_fmac_f32_e32 v25, 0xbf788fa5, v17
	v_sub_f32_e32 v13, v8, v10
	v_fma_f32 v7, v104, s15, -v6
	v_fma_f32 v22, v17, s8, -v22
	v_add_f32_e32 v93, v25, v93
	v_mov_b32_e32 v25, v24
	v_add_f32_e32 v105, v9, v11
	v_add_f32_e32 v24, v7, v15
	v_mul_f32_e32 v7, 0xbe750f2a, v13
	v_fmac_f32_e32 v6, 0xbf788fa5, v104
	v_add_f32_e32 v22, v22, v56
	v_add_f32_e32 v56, v6, v14
	v_fma_f32 v6, v105, s15, -v7
	v_mov_b32_e32 v8, v7
	v_add_f32_e32 v57, v6, v18
	v_mul_f32_e32 v6, 0x3eedf032, v12
	v_fmac_f32_e32 v25, 0x3f62ad3f, v17
	v_fmac_f32_e32 v8, 0xbf788fa5, v105
	v_fma_f32 v7, v104, s6, -v6
	v_add_f32_e32 v97, v25, v97
	v_add_f32_e32 v25, v8, v20
	;; [unrolled: 1-line block ×3, first 2 shown]
	v_mul_f32_e32 v7, 0x3eedf032, v13
	v_mov_b32_e32 v8, v7
	v_fmac_f32_e32 v8, 0x3f62ad3f, v105
	v_fmac_f32_e32 v6, 0x3f62ad3f, v104
	v_add_f32_e32 v21, v8, v58
	v_add_f32_e32 v58, v6, v19
	v_fma_f32 v6, v105, s6, -v7
	v_add_f32_e32 v59, v6, v22
	v_mul_f32_e32 v6, 0xbf29c268, v12
	v_fma_f32 v7, v104, s14, -v6
	v_add_f32_e32 v22, v7, v100
	v_mul_f32_e32 v7, 0xbf29c268, v13
	v_mov_b32_e32 v8, v7
	v_fmac_f32_e32 v23, 0xbeb58ec6, v17
	v_fmac_f32_e32 v8, 0xbf3f9e67, v105
	v_add_f32_e32 v99, v23, v99
	v_add_f32_e32 v23, v8, v88
	v_mul_f32_e32 v8, 0x3f52af12, v12
	v_fma_f32 v9, v104, s7, -v8
	v_add_f32_e32 v16, v9, v91
	v_mul_f32_e32 v9, 0x3f52af12, v13
	v_mov_b32_e32 v10, v9
	v_fma_f32 v7, v105, s14, -v7
	v_fmac_f32_e32 v10, 0x3f116cb1, v105
	v_add_f32_e32 v7, v7, v74
	v_add_f32_e32 v17, v10, v93
	v_fmac_f32_e32 v8, 0x3f116cb1, v104
	v_mul_f32_e32 v10, 0xbf6f5d39, v12
	v_mov_b32_e32 v74, 0xa90
	v_add_f32_e32 v8, v8, v75
	v_fma_f32 v11, v104, s9, -v10
	v_cndmask_b32_e64 v74, 0, v74, s[2:3]
	v_lshlrev_b32_e32 v75, 3, v90
	v_add_f32_e32 v18, v11, v95
	v_mul_f32_e32 v11, 0xbf6f5d39, v13
	v_add3_u32 v74, 0, v74, v75
	v_mov_b32_e32 v14, v11
	s_waitcnt lgkmcnt(0)
	; wave barrier
	ds_write2_b64 v74, v[2:3], v[28:29] offset1:26
	ds_write2_b64 v74, v[30:31], v[34:35] offset0:52 offset1:78
	ds_write2_b64 v74, v[60:61], v[64:65] offset0:104 offset1:130
	;; [unrolled: 1-line block ×4, first 2 shown]
	v_add_u32_e32 v2, 0x800, v74
	v_fmac_f32_e32 v14, 0xbeb58ec6, v105
	v_mul_f32_e32 v15, 0x3f7e222b, v13
	ds_write2_b64 v2, v[32:33], v[26:27] offset0:4 offset1:30
	ds_write_b64 v74, v[0:1] offset:2496
	v_mov_b32_e32 v1, 3
	v_add_f32_e32 v19, v14, v97
	v_mul_f32_e32 v14, 0x3f7e222b, v12
	v_mov_b32_e32 v13, v15
	v_mul_u32_u24_e32 v0, 0xa90, v89
	v_lshlrev_b32_sdwa v1, v1, v54 dst_sel:DWORD dst_unused:UNUSED_PAD src0_sel:DWORD src1_sel:BYTE_0
	v_fmac_f32_e32 v6, 0xbf3f9e67, v104
	v_fma_f32 v12, v104, s8, -v14
	v_fmac_f32_e32 v13, 0x3df6dbef, v105
	v_fmac_f32_e32 v14, 0x3df6dbef, v104
	v_fma_f32 v15, v105, s8, -v15
	v_add3_u32 v0, 0, v0, v1
	v_add_f32_e32 v6, v6, v101
	v_fma_f32 v9, v105, s7, -v9
	v_fmac_f32_e32 v10, 0xbeb58ec6, v104
	v_fma_f32 v11, v105, s9, -v11
	v_add_f32_e32 v12, v12, v98
	v_add_f32_e32 v13, v13, v99
	;; [unrolled: 1-line block ×4, first 2 shown]
	v_add_u32_e32 v1, 0x800, v0
	v_add_f32_e32 v9, v9, v92
	v_add_f32_e32 v10, v10, v94
	;; [unrolled: 1-line block ×3, first 2 shown]
	ds_write2_b64 v0, v[4:5], v[24:25] offset1:26
	ds_write2_b64 v0, v[20:21], v[22:23] offset0:52 offset1:78
	ds_write2_b64 v0, v[16:17], v[18:19] offset0:104 offset1:130
	ds_write2_b64 v0, v[12:13], v[14:15] offset0:156 offset1:182
	ds_write2_b64 v0, v[10:11], v[8:9] offset0:208 offset1:234
	ds_write2_b64 v1, v[6:7], v[58:59] offset0:4 offset1:30
	ds_write_b64 v0, v[56:57] offset:2496
	s_waitcnt lgkmcnt(0)
	; wave barrier
	s_waitcnt lgkmcnt(0)
	ds_read2_b64 v[32:35], v72 offset0:82 offset1:134
	ds_read2_b64 v[28:31], v39 offset0:164 offset1:216
	ds_read2_b64 v[24:27], v73 offset0:118 offset1:170
	ds_read_b64 v[74:75], v76
	ds_read_b64 v[68:69], v81
	ds_read2_b64 v[20:23], v72 offset0:186 offset1:238
	ds_read2_b64 v[16:19], v83 offset0:12 offset1:64
	;; [unrolled: 1-line block ×3, first 2 shown]
	ds_read_b64 v[72:73], v82
	ds_read_b64 v[66:67], v80
	ds_read2_b64 v[8:11], v39 offset0:34 offset1:86
	ds_read2_b64 v[4:7], v83 offset0:116 offset1:168
	;; [unrolled: 1-line block ×3, first 2 shown]
	v_lshl_add_u32 v88, v52, 3, 0
	v_lshl_add_u32 v83, v49, 3, 0
	ds_read_b64 v[70:71], v88
	ds_read_b64 v[64:65], v83
	v_sub_u32_e32 v39, 0, v86
	v_add_u32_e32 v84, v85, v39
                                        ; implicit-def: $vgpr61
                                        ; implicit-def: $vgpr63
	s_and_saveexec_b64 s[2:3], vcc
	s_cbranch_execz .LBB0_15
; %bb.14:
	ds_read_b64 v[56:57], v76 offset:5200
	ds_read_b64 v[60:61], v76 offset:7904
	ds_read_b64 v[58:59], v84
	ds_read_b64 v[62:63], v76 offset:10608
	v_mov_b32_e32 v87, v51
.LBB0_15:
	s_or_b64 exec, exec, s[2:3]
	v_mul_i32_i24_e32 v54, 3, v40
	v_mul_u32_u24_e32 v39, 3, v38
	v_lshlrev_b64 v[93:94], 3, v[54:55]
	v_lshlrev_b32_e32 v39, 3, v39
	global_load_dwordx4 v[89:92], v39, s[12:13] offset:2688
	global_load_dwordx2 v[85:86], v39, s[12:13] offset:2704
	v_mov_b32_e32 v39, s13
	v_add_co_u32_e64 v97, s[2:3], s12, v93
	v_addc_co_u32_e64 v98, s[2:3], v39, v94, s[2:3]
	v_mul_i32_i24_e32 v54, 3, v53
	global_load_dwordx4 v[93:96], v[97:98], off offset:2688
	global_load_dwordx2 v[113:114], v[97:98], off offset:2704
	v_lshlrev_b64 v[97:98], 3, v[54:55]
	v_mul_i32_i24_e32 v54, 3, v52
	v_add_co_u32_e64 v101, s[2:3], s12, v97
	v_addc_co_u32_e64 v102, s[2:3], v39, v98, s[2:3]
	global_load_dwordx4 v[97:100], v[101:102], off offset:2688
	global_load_dwordx2 v[115:116], v[101:102], off offset:2704
	v_lshlrev_b64 v[101:102], 3, v[54:55]
	v_mul_i32_i24_e32 v54, 3, v47
	v_add_co_u32_e64 v105, s[2:3], s12, v101
	v_addc_co_u32_e64 v106, s[2:3], v39, v102, s[2:3]
	;; [unrolled: 6-line block ×3, first 2 shown]
	v_lshlrev_b64 v[54:55], 3, v[54:55]
	global_load_dwordx4 v[105:108], v[109:110], off offset:2688
	global_load_dwordx2 v[119:120], v[109:110], off offset:2704
	v_add_co_u32_e64 v54, s[2:3], s12, v54
	v_addc_co_u32_e64 v55, s[2:3], v39, v55, s[2:3]
	global_load_dwordx4 v[109:112], v[54:55], off offset:2688
	global_load_dwordx2 v[121:122], v[54:55], off offset:2704
	s_waitcnt lgkmcnt(0)
	; wave barrier
	s_waitcnt vmcnt(11) lgkmcnt(0)
	v_mul_f32_e32 v39, v90, v33
	v_mul_f32_e32 v54, v90, v32
	;; [unrolled: 1-line block ×4, first 2 shown]
	s_waitcnt vmcnt(10)
	v_mul_f32_e32 v92, v86, v25
	v_mul_f32_e32 v86, v86, v24
	v_fmac_f32_e32 v90, v91, v29
	v_fmac_f32_e32 v86, v85, v25
	s_waitcnt vmcnt(9)
	v_mul_f32_e32 v25, v94, v35
	v_mul_f32_e32 v29, v94, v34
	v_fmac_f32_e32 v54, v89, v33
	v_fma_f32 v28, v91, v28, -v55
	v_mul_f32_e32 v33, v96, v31
	s_waitcnt vmcnt(8)
	v_mul_f32_e32 v55, v114, v27
	v_fma_f32 v25, v93, v34, -v25
	v_fmac_f32_e32 v29, v93, v35
	s_waitcnt vmcnt(7)
	v_mul_f32_e32 v34, v16, v100
	s_waitcnt vmcnt(6)
	v_mul_f32_e32 v35, v13, v116
	v_fma_f32 v32, v89, v32, -v39
	v_fma_f32 v24, v85, v24, -v92
	v_mul_f32_e32 v39, v96, v30
	v_mul_f32_e32 v85, v114, v26
	v_fma_f32 v30, v95, v30, -v33
	v_fma_f32 v26, v113, v26, -v55
	v_mul_f32_e32 v33, v17, v100
	v_mul_f32_e32 v55, v12, v116
	v_fmac_f32_e32 v34, v17, v99
	v_fma_f32 v17, v12, v115, -v35
	s_waitcnt vmcnt(5)
	v_mul_f32_e32 v12, v23, v102
	v_fma_f32 v35, v22, v101, -v12
	s_waitcnt vmcnt(4)
	v_mul_f32_e32 v12, v15, v118
	;; [unrolled: 3-line block ×3, first 2 shown]
	v_fma_f32 v93, v8, v105, -v12
	v_mul_f32_e32 v94, v8, v106
	v_mul_f32_e32 v8, v5, v108
	v_fmac_f32_e32 v39, v95, v31
	v_fmac_f32_e32 v85, v113, v27
	v_mul_f32_e32 v27, v98, v21
	v_mul_f32_e32 v31, v98, v20
	v_fma_f32 v95, v4, v107, -v8
	v_mul_f32_e32 v96, v4, v108
	s_waitcnt vmcnt(2)
	v_mul_f32_e32 v4, v1, v120
	v_fma_f32 v20, v97, v20, -v27
	v_fmac_f32_e32 v31, v97, v21
	v_fma_f32 v97, v0, v119, -v4
	v_mul_f32_e32 v98, v0, v120
	s_waitcnt vmcnt(1)
	v_mul_f32_e32 v0, v11, v110
	v_fma_f32 v16, v16, v99, -v33
	v_fmac_f32_e32 v55, v13, v115
	v_mul_f32_e32 v27, v22, v102
	v_mul_f32_e32 v33, v18, v104
	;; [unrolled: 1-line block ×3, first 2 shown]
	v_fma_f32 v99, v10, v109, -v0
	v_mul_f32_e32 v0, v7, v112
	v_mul_f32_e32 v13, v19, v104
	v_fmac_f32_e32 v27, v23, v101
	v_fmac_f32_e32 v33, v19, v103
	;; [unrolled: 1-line block ×4, first 2 shown]
	v_fma_f32 v101, v6, v111, -v0
	s_waitcnt vmcnt(0)
	v_mul_f32_e32 v0, v3, v122
	v_sub_f32_e32 v5, v32, v24
	v_sub_f32_e32 v24, v31, v55
	v_fma_f32 v89, v18, v103, -v13
	v_fmac_f32_e32 v94, v9, v105
	v_fmac_f32_e32 v98, v1, v119
	v_fma_f32 v103, v2, v121, -v0
	v_sub_f32_e32 v4, v54, v86
	v_fma_f32 v0, v32, 2.0, -v5
	v_sub_f32_e32 v13, v25, v26
	v_sub_f32_e32 v21, v20, v17
	v_fma_f32 v17, v31, 2.0, -v24
	v_sub_f32_e32 v31, v71, v33
	v_sub_f32_e32 v32, v27, v92
	v_mul_f32_e32 v100, v10, v110
	v_mul_f32_e32 v102, v6, v112
	v_mul_f32_e32 v104, v2, v122
	v_sub_f32_e32 v6, v74, v28
	v_fma_f32 v1, v54, 2.0, -v4
	v_sub_f32_e32 v15, v73, v39
	v_fma_f32 v8, v25, 2.0, -v13
	;; [unrolled: 2-line block ×3, first 2 shown]
	v_fma_f32 v25, v27, 2.0, -v32
	v_sub_f32_e32 v39, v66, v95
	v_sub_f32_e32 v54, v94, v98
	v_fmac_f32_e32 v100, v11, v109
	v_fmac_f32_e32 v102, v7, v111
	;; [unrolled: 1-line block ×3, first 2 shown]
	v_sub_f32_e32 v7, v75, v90
	v_sub_f32_e32 v14, v72, v30
	;; [unrolled: 1-line block ×3, first 2 shown]
	v_fma_f32 v18, v68, 2.0, -v22
	v_sub_f32_e32 v30, v70, v89
	v_sub_f32_e32 v25, v28, v25
	;; [unrolled: 1-line block ×4, first 2 shown]
	v_fma_f32 v33, v94, 2.0, -v54
	v_sub_f32_e32 v54, v39, v54
	v_fma_f32 v2, v74, 2.0, -v6
	v_fma_f32 v3, v75, 2.0, -v7
	;; [unrolled: 1-line block ×4, first 2 shown]
	v_sub_f32_e32 v23, v69, v34
	v_fma_f32 v26, v70, 2.0, -v30
	v_sub_f32_e32 v29, v35, v91
	v_fma_f32 v27, v28, 2.0, -v25
	v_sub_f32_e32 v28, v30, v32
	v_fma_f32 v34, v66, 2.0, -v39
	v_fma_f32 v32, v93, 2.0, -v55
	v_add_f32_e32 v55, v68, v55
	v_fma_f32 v66, v39, 2.0, -v54
	v_sub_f32_e32 v39, v64, v101
	v_sub_f32_e32 v73, v65, v102
	;; [unrolled: 1-line block ×6, first 2 shown]
	v_fma_f32 v10, v72, 2.0, -v14
	v_fma_f32 v19, v69, 2.0, -v23
	;; [unrolled: 1-line block ×3, first 2 shown]
	v_sub_f32_e32 v20, v22, v24
	v_fma_f32 v24, v35, 2.0, -v29
	v_fma_f32 v35, v67, 2.0, -v68
	;; [unrolled: 1-line block ×9, first 2 shown]
	v_sub_f32_e32 v4, v6, v4
	v_add_f32_e32 v5, v7, v5
	v_sub_f32_e32 v8, v10, v8
	v_sub_f32_e32 v9, v11, v9
	;; [unrolled: 1-line block ×3, first 2 shown]
	v_add_f32_e32 v13, v15, v13
	v_sub_f32_e32 v16, v18, v16
	v_sub_f32_e32 v17, v19, v17
	v_add_f32_e32 v21, v23, v21
	v_sub_f32_e32 v24, v26, v24
	v_add_f32_e32 v29, v31, v29
	v_sub_f32_e32 v32, v34, v32
	v_sub_f32_e32 v33, v35, v33
	;; [unrolled: 1-line block ×5, first 2 shown]
	v_add_f32_e32 v71, v73, v71
	v_fma_f32 v6, v6, 2.0, -v4
	v_fma_f32 v7, v7, 2.0, -v5
	;; [unrolled: 1-line block ×19, first 2 shown]
	ds_write_b64 v76, v[2:3]
	ds_write_b64 v76, v[6:7] offset:2704
	ds_write_b64 v76, v[0:1] offset:5408
	ds_write_b64 v76, v[4:5] offset:8112
	ds_write_b64 v82, v[10:11]
	ds_write_b64 v82, v[14:15] offset:2704
	ds_write_b64 v82, v[8:9] offset:5408
	ds_write_b64 v82, v[12:13] offset:8112
	;; [unrolled: 4-line block ×6, first 2 shown]
	s_and_saveexec_b64 s[2:3], vcc
	s_cbranch_execz .LBB0_17
; %bb.16:
	v_mul_i32_i24_e32 v0, 3, v87
	v_mov_b32_e32 v1, 0
	v_lshlrev_b64 v[0:1], 3, v[0:1]
	v_mov_b32_e32 v2, s13
	v_add_co_u32_e32 v4, vcc, s12, v0
	v_addc_co_u32_e32 v5, vcc, v2, v1, vcc
	global_load_dwordx4 v[0:3], v[4:5], off offset:2688
	global_load_dwordx2 v[6:7], v[4:5], off offset:2704
	s_waitcnt vmcnt(1)
	v_mul_f32_e32 v4, v60, v3
	v_mul_f32_e32 v5, v57, v1
	s_waitcnt vmcnt(0)
	v_mul_f32_e32 v8, v63, v7
	v_mul_f32_e32 v3, v61, v3
	;; [unrolled: 1-line block ×4, first 2 shown]
	v_fmac_f32_e32 v4, v61, v2
	v_fma_f32 v5, v56, v0, -v5
	v_fma_f32 v7, v62, v6, -v8
	;; [unrolled: 1-line block ×3, first 2 shown]
	v_fmac_f32_e32 v9, v57, v0
	v_fmac_f32_e32 v1, v63, v6
	v_sub_f32_e32 v3, v59, v4
	v_sub_f32_e32 v4, v5, v7
	;; [unrolled: 1-line block ×4, first 2 shown]
	v_add_f32_e32 v1, v3, v4
	v_sub_f32_e32 v0, v2, v6
	v_fma_f32 v7, v59, 2.0, -v3
	v_fma_f32 v6, v9, 2.0, -v6
	;; [unrolled: 1-line block ×6, first 2 shown]
	v_sub_f32_e32 v5, v7, v6
	v_sub_f32_e32 v4, v8, v4
	v_fma_f32 v7, v7, 2.0, -v5
	v_fma_f32 v6, v8, 2.0, -v4
	ds_write_b64 v76, v[2:3] offset:5200
	ds_write_b64 v76, v[4:5] offset:7904
	;; [unrolled: 1-line block ×4, first 2 shown]
.LBB0_17:
	s_or_b64 exec, exec, s[2:3]
	s_waitcnt lgkmcnt(0)
	; wave barrier
	s_waitcnt lgkmcnt(0)
	ds_read_b64 v[4:5], v76
	s_add_u32 s6, s12, 0x2a30
	v_lshlrev_b32_e32 v0, 3, v38
	s_addc_u32 s7, s13, 0
	v_sub_u32_e32 v6, 0, v0
	v_cmp_ne_u32_e32 vcc, 0, v38
                                        ; implicit-def: $vgpr3
                                        ; implicit-def: $vgpr10
                                        ; implicit-def: $vgpr0_vgpr1
	s_and_saveexec_b64 s[2:3], vcc
	s_xor_b64 s[2:3], exec, s[2:3]
	s_cbranch_execz .LBB0_19
; %bb.18:
	v_mov_b32_e32 v39, 0
	v_lshlrev_b64 v[0:1], 3, v[38:39]
	v_mov_b32_e32 v2, s7
	v_add_co_u32_e32 v0, vcc, s6, v0
	v_addc_co_u32_e32 v1, vcc, v2, v1, vcc
	global_load_dwordx2 v[0:1], v[0:1], off
	ds_read_b64 v[2:3], v6 offset:10816
	s_waitcnt lgkmcnt(0)
	v_add_f32_e32 v7, v2, v4
	v_sub_f32_e32 v2, v4, v2
	v_add_f32_e32 v8, v3, v5
	v_sub_f32_e32 v3, v5, v3
	v_mul_f32_e32 v2, 0.5, v2
	v_mul_f32_e32 v4, 0.5, v8
	;; [unrolled: 1-line block ×3, first 2 shown]
	s_waitcnt vmcnt(0)
	v_mul_f32_e32 v5, v1, v2
	v_fma_f32 v8, v4, v1, v3
	v_fma_f32 v1, v4, v1, -v3
	v_fma_f32 v9, 0.5, v7, v5
	v_fma_f32 v5, v7, 0.5, -v5
	v_fma_f32 v10, -v0, v2, v8
	v_fma_f32 v3, -v0, v2, v1
	v_fmac_f32_e32 v9, v0, v4
	v_fma_f32 v2, -v0, v4, v5
	v_mov_b32_e32 v0, v38
	ds_write_b32 v76, v9
	v_mov_b32_e32 v1, v39
                                        ; implicit-def: $vgpr4_vgpr5
.LBB0_19:
	s_or_saveexec_b64 s[2:3], s[2:3]
	v_sub_u32_e32 v9, 0, v48
	v_sub_u32_e32 v8, 0, v50
	v_sub_u32_e32 v7, 0, v41
	s_xor_b64 exec, exec, s[2:3]
	s_cbranch_execz .LBB0_21
; %bb.20:
	v_mov_b32_e32 v10, 0
	ds_read_b32 v3, v10 offset:5412
	v_mov_b32_e32 v0, 0
	s_waitcnt lgkmcnt(1)
	v_add_f32_e32 v11, v4, v5
	v_sub_f32_e32 v2, v4, v5
	v_mov_b32_e32 v1, 0
	s_waitcnt lgkmcnt(0)
	v_xor_b32_e32 v3, 0x80000000, v3
	ds_write_b32 v10, v3 offset:5412
	v_mov_b32_e32 v3, v10
	ds_write_b32 v76, v11
.LBB0_21:
	s_or_b64 exec, exec, s[2:3]
	v_mov_b32_e32 v41, 0
	s_waitcnt lgkmcnt(0)
	v_lshlrev_b64 v[4:5], 3, v[40:41]
	v_mov_b32_e32 v11, s7
	v_add_co_u32_e32 v4, vcc, s6, v4
	v_addc_co_u32_e32 v5, vcc, v11, v5, vcc
	global_load_dwordx2 v[4:5], v[4:5], off
	v_mov_b32_e32 v54, v41
	v_lshlrev_b64 v[11:12], 3, v[53:54]
	v_mov_b32_e32 v13, s7
	v_add_co_u32_e32 v11, vcc, s6, v11
	v_addc_co_u32_e32 v12, vcc, v13, v12, vcc
	global_load_dwordx2 v[11:12], v[11:12], off
	v_mov_b32_e32 v53, v41
	;; [unrolled: 6-line block ×3, first 2 shown]
	v_lshlrev_b64 v[17:18], 3, v[47:48]
	ds_write_b32 v76, v10 offset:4
	ds_write_b64 v6, v[2:3] offset:10816
	v_mov_b32_e32 v10, s7
	v_add_co_u32_e32 v17, vcc, s6, v17
	ds_read_b64 v[2:3], v82
	ds_read_b64 v[15:16], v6 offset:10400
	v_addc_co_u32_e32 v18, vcc, v10, v18, vcc
	global_load_dwordx2 v[17:18], v[17:18], off
	v_mov_b32_e32 v50, v41
	s_waitcnt lgkmcnt(0)
	v_add_f32_e32 v10, v2, v15
	v_sub_f32_e32 v2, v2, v15
	v_add_f32_e32 v25, v3, v16
	v_sub_f32_e32 v3, v3, v16
	v_mul_f32_e32 v16, 0.5, v2
	v_mul_f32_e32 v15, 0.5, v25
	;; [unrolled: 1-line block ×3, first 2 shown]
	v_lshlrev_b64 v[19:20], 3, v[49:50]
	v_mov_b32_e32 v23, s7
	v_mov_b32_e32 v52, v41
	v_lshlrev_b64 v[21:22], 3, v[51:52]
	v_mov_b32_e32 v24, s7
	v_lshlrev_b64 v[0:1], 3, v[0:1]
	v_mov_b32_e32 v47, v41
	s_movk_i32 s2, 0x1000
	v_add_u32_e32 v7, v77, v7
	s_waitcnt vmcnt(3)
	v_mul_f32_e32 v25, v5, v16
	v_fma_f32 v3, v15, v5, v2
	v_fma_f32 v5, v15, v5, -v2
	v_fma_f32 v2, 0.5, v10, v25
	v_fma_f32 v3, -v4, v16, v3
	v_fma_f32 v10, v10, 0.5, -v25
	v_fmac_f32_e32 v2, v4, v15
	v_fma_f32 v5, -v4, v16, v5
	v_fma_f32 v4, -v4, v15, v10
	ds_write_b64 v82, v[2:3]
	ds_write_b64 v6, v[4:5] offset:10400
	ds_read_b64 v[2:3], v81
	ds_read_b64 v[4:5], v6 offset:9984
	v_add_co_u32_e32 v15, vcc, s6, v19
	v_addc_co_u32_e32 v16, vcc, v23, v20, vcc
	global_load_dwordx2 v[15:16], v[15:16], off
	s_waitcnt lgkmcnt(0)
	v_add_f32_e32 v10, v2, v4
	v_sub_f32_e32 v2, v2, v4
	v_add_f32_e32 v19, v3, v5
	v_sub_f32_e32 v3, v3, v5
	v_mul_f32_e32 v5, 0.5, v2
	v_mul_f32_e32 v4, 0.5, v19
	v_mul_f32_e32 v2, 0.5, v3
	s_waitcnt vmcnt(3)
	v_mul_f32_e32 v19, v12, v5
	v_fma_f32 v3, v4, v12, v2
	v_fma_f32 v12, v4, v12, -v2
	v_fma_f32 v2, 0.5, v10, v19
	v_fma_f32 v3, -v11, v5, v3
	v_fma_f32 v10, v10, 0.5, -v19
	v_fmac_f32_e32 v2, v11, v4
	v_fma_f32 v5, -v11, v5, v12
	v_fma_f32 v4, -v11, v4, v10
	ds_write_b64 v81, v[2:3]
	ds_write_b64 v6, v[4:5] offset:9984
	ds_read_b64 v[2:3], v88
	ds_read_b64 v[4:5], v6 offset:9568
	v_add_co_u32_e32 v10, vcc, s6, v21
	v_addc_co_u32_e32 v11, vcc, v24, v22, vcc
	s_waitcnt lgkmcnt(0)
	v_add_f32_e32 v12, v2, v4
	v_sub_f32_e32 v2, v2, v4
	global_load_dwordx2 v[10:11], v[10:11], off
	v_add_f32_e32 v19, v3, v5
	v_sub_f32_e32 v3, v3, v5
	v_mul_f32_e32 v5, 0.5, v2
	v_mul_f32_e32 v4, 0.5, v19
	v_mul_f32_e32 v2, 0.5, v3
	s_waitcnt vmcnt(3)
	v_mul_f32_e32 v19, v14, v5
	v_fma_f32 v3, v4, v14, v2
	v_fma_f32 v14, v4, v14, -v2
	v_fma_f32 v2, 0.5, v12, v19
	v_fma_f32 v3, -v13, v5, v3
	v_fma_f32 v12, v12, 0.5, -v19
	v_fmac_f32_e32 v2, v13, v4
	v_fma_f32 v5, -v13, v5, v14
	v_fma_f32 v4, -v13, v4, v12
	ds_write_b64 v88, v[2:3]
	ds_write_b64 v6, v[4:5] offset:9568
	ds_read_b64 v[2:3], v80
	ds_read_b64 v[4:5], v6 offset:9152
	v_add_co_u32_e32 v0, vcc, s6, v0
	s_waitcnt lgkmcnt(0)
	v_add_f32_e32 v12, v2, v4
	v_sub_f32_e32 v2, v2, v4
	v_mul_f32_e32 v14, 0.5, v2
	v_mov_b32_e32 v2, s7
	v_addc_co_u32_e32 v1, vcc, v2, v1, vcc
	v_add_f32_e32 v13, v3, v5
	v_sub_f32_e32 v4, v3, v5
	global_load_dwordx2 v[2:3], v[0:1], off offset:2912
	v_mul_f32_e32 v13, 0.5, v13
	v_mul_f32_e32 v19, 0.5, v4
	s_waitcnt vmcnt(3)
	v_mul_f32_e32 v20, v18, v14
	v_fma_f32 v4, 0.5, v12, v20
	v_fma_f32 v5, v13, v18, v19
	v_fmac_f32_e32 v4, v17, v13
	v_fma_f32 v5, -v17, v14, v5
	ds_write_b64 v80, v[4:5]
	v_fma_f32 v4, v12, 0.5, -v20
	v_fma_f32 v5, v13, v18, -v19
	v_fma_f32 v4, -v17, v13, v4
	v_fma_f32 v5, -v17, v14, v5
	ds_write_b64 v6, v[4:5] offset:9152
	ds_read_b64 v[4:5], v83
	ds_read_b64 v[12:13], v6 offset:8736
	s_waitcnt lgkmcnt(0)
	v_add_f32_e32 v14, v4, v12
	v_sub_f32_e32 v4, v4, v12
	v_add_f32_e32 v17, v5, v13
	v_sub_f32_e32 v5, v5, v13
	v_mul_f32_e32 v18, 0.5, v4
	v_mul_f32_e32 v17, 0.5, v17
	;; [unrolled: 1-line block ×3, first 2 shown]
	s_waitcnt vmcnt(2)
	v_mul_f32_e32 v20, v16, v18
	v_fma_f32 v12, 0.5, v14, v20
	v_fma_f32 v13, v17, v16, v19
	v_fmac_f32_e32 v12, v15, v17
	v_fma_f32 v13, -v15, v18, v13
	ds_write_b64 v83, v[12:13]
	v_fma_f32 v12, v14, 0.5, -v20
	v_fma_f32 v12, -v15, v17, v12
	v_fma_f32 v13, v17, v16, -v19
	v_lshlrev_b64 v[16:17], 3, v[46:47]
	v_fma_f32 v13, -v15, v18, v13
	ds_write_b64 v6, v[12:13] offset:8736
	v_mov_b32_e32 v18, s7
	v_add_co_u32_e32 v16, vcc, s6, v16
	global_load_dwordx2 v[4:5], v[0:1], off offset:3744
	ds_read_b64 v[12:13], v84
	ds_read_b64 v[14:15], v6 offset:8320
	v_addc_co_u32_e32 v17, vcc, v18, v17, vcc
	global_load_dwordx2 v[16:17], v[16:17], off
	v_mov_b32_e32 v46, v41
	s_waitcnt lgkmcnt(0)
	v_add_f32_e32 v18, v12, v14
	v_sub_f32_e32 v12, v12, v14
	v_add_f32_e32 v19, v13, v15
	v_sub_f32_e32 v13, v13, v15
	v_mul_f32_e32 v14, 0.5, v12
	v_mul_f32_e32 v19, 0.5, v19
	;; [unrolled: 1-line block ×3, first 2 shown]
	s_waitcnt vmcnt(3)
	v_mul_f32_e32 v20, v11, v14
	v_fma_f32 v12, 0.5, v18, v20
	v_fma_f32 v13, v19, v11, v15
	v_fmac_f32_e32 v12, v10, v19
	v_fma_f32 v13, -v10, v14, v13
	ds_write_b64 v84, v[12:13]
	v_fma_f32 v12, v18, 0.5, -v20
	v_fma_f32 v11, v19, v11, -v15
	v_fma_f32 v12, -v10, v19, v12
	v_fma_f32 v13, -v10, v14, v11
	ds_write_b64 v6, v[12:13] offset:8320
	ds_read_b64 v[10:11], v76 offset:2912
	ds_read_b64 v[12:13], v6 offset:7904
	s_waitcnt lgkmcnt(0)
	v_add_f32_e32 v14, v10, v12
	v_sub_f32_e32 v10, v10, v12
	v_add_f32_e32 v15, v11, v13
	v_sub_f32_e32 v11, v11, v13
	v_mul_f32_e32 v18, 0.5, v10
	v_mul_f32_e32 v15, 0.5, v15
	;; [unrolled: 1-line block ×3, first 2 shown]
	s_waitcnt vmcnt(2)
	v_mul_f32_e32 v13, v3, v18
	v_fma_f32 v10, 0.5, v14, v13
	v_fma_f32 v11, v15, v3, v12
	v_fmac_f32_e32 v10, v2, v15
	v_fma_f32 v11, -v2, v18, v11
	ds_write_b64 v76, v[10:11] offset:2912
	v_fma_f32 v3, v15, v3, -v12
	v_lshlrev_b64 v[11:12], 3, v[45:46]
	v_fma_f32 v10, v14, 0.5, -v13
	v_mov_b32_e32 v13, s7
	v_add_co_u32_e32 v11, vcc, s6, v11
	v_addc_co_u32_e32 v12, vcc, v13, v12, vcc
	global_load_dwordx2 v[12:13], v[11:12], off
	v_fma_f32 v10, -v2, v15, v10
	v_fma_f32 v11, -v2, v18, v3
	v_add_co_u32_e32 v0, vcc, s2, v0
	ds_write_b64 v6, v[10:11] offset:7904
	v_add_u32_e32 v11, v79, v9
	v_addc_co_u32_e32 v1, vcc, 0, v1, vcc
	ds_read_b64 v[2:3], v11
	ds_read_b64 v[9:10], v6 offset:7488
	global_load_dwordx2 v[0:1], v[0:1], off offset:480
	v_mov_b32_e32 v45, v41
	s_waitcnt lgkmcnt(0)
	v_add_f32_e32 v14, v2, v9
	v_add_f32_e32 v15, v3, v10
	v_sub_f32_e32 v2, v2, v9
	v_sub_f32_e32 v3, v3, v10
	v_mul_f32_e32 v18, 0.5, v2
	v_mul_f32_e32 v19, 0.5, v3
	v_lshlrev_b64 v[2:3], 3, v[44:45]
	v_mov_b32_e32 v9, s7
	v_add_co_u32_e32 v2, vcc, s6, v2
	v_addc_co_u32_e32 v3, vcc, v9, v3, vcc
	global_load_dwordx2 v[2:3], v[2:3], off
	v_mul_f32_e32 v15, 0.5, v15
	s_waitcnt vmcnt(3)
	v_mul_f32_e32 v20, v17, v18
	v_fma_f32 v9, 0.5, v14, v20
	v_fma_f32 v10, v15, v17, v19
	v_fmac_f32_e32 v9, v16, v15
	v_fma_f32 v10, -v16, v18, v10
	ds_write_b64 v11, v[9:10]
	v_fma_f32 v9, v14, 0.5, -v20
	v_fma_f32 v10, v15, v17, -v19
	v_fma_f32 v9, -v16, v15, v9
	v_fma_f32 v10, -v16, v18, v10
	ds_write_b64 v6, v[9:10] offset:7488
	ds_read_b64 v[9:10], v76 offset:3744
	ds_read_b64 v[14:15], v6 offset:7072
	s_waitcnt lgkmcnt(0)
	v_add_f32_e32 v11, v9, v14
	v_sub_f32_e32 v9, v9, v14
	v_add_f32_e32 v16, v10, v15
	v_sub_f32_e32 v10, v10, v15
	v_mul_f32_e32 v14, 0.5, v9
	v_mul_f32_e32 v16, 0.5, v16
	;; [unrolled: 1-line block ×3, first 2 shown]
	v_mul_f32_e32 v17, v5, v14
	v_fma_f32 v9, 0.5, v11, v17
	v_fma_f32 v10, v16, v5, v15
	v_fmac_f32_e32 v9, v4, v16
	v_fma_f32 v10, -v4, v14, v10
	ds_write_b64 v76, v[9:10] offset:3744
	v_fma_f32 v9, v11, 0.5, -v17
	v_fma_f32 v5, v16, v5, -v15
	v_fma_f32 v9, -v4, v16, v9
	v_fma_f32 v10, -v4, v14, v5
	ds_write_b64 v6, v[9:10] offset:7072
	v_add_u32_e32 v10, v78, v8
	ds_read_b64 v[4:5], v10
	ds_read_b64 v[8:9], v6 offset:6656
	s_waitcnt lgkmcnt(0)
	v_add_f32_e32 v11, v4, v8
	v_sub_f32_e32 v4, v4, v8
	v_add_f32_e32 v14, v5, v9
	v_sub_f32_e32 v5, v5, v9
	v_mul_f32_e32 v8, 0.5, v4
	v_mul_f32_e32 v14, 0.5, v14
	;; [unrolled: 1-line block ×3, first 2 shown]
	s_waitcnt vmcnt(2)
	v_mul_f32_e32 v15, v13, v8
	v_fma_f32 v4, 0.5, v11, v15
	v_fma_f32 v5, v14, v13, v9
	v_fmac_f32_e32 v4, v12, v14
	v_fma_f32 v5, -v12, v8, v5
	ds_write_b64 v10, v[4:5]
	v_fma_f32 v4, v11, 0.5, -v15
	v_fma_f32 v5, v14, v13, -v9
	v_fma_f32 v4, -v12, v14, v4
	v_fma_f32 v5, -v12, v8, v5
	ds_write_b64 v6, v[4:5] offset:6656
	ds_read_b64 v[4:5], v76 offset:4576
	ds_read_b64 v[8:9], v6 offset:6240
	s_waitcnt lgkmcnt(0)
	v_add_f32_e32 v10, v4, v8
	v_sub_f32_e32 v4, v4, v8
	v_add_f32_e32 v11, v5, v9
	v_sub_f32_e32 v5, v5, v9
	v_mul_f32_e32 v8, 0.5, v4
	v_mul_f32_e32 v11, 0.5, v11
	;; [unrolled: 1-line block ×3, first 2 shown]
	s_waitcnt vmcnt(1)
	v_mul_f32_e32 v12, v1, v8
	v_fma_f32 v4, 0.5, v10, v12
	v_fma_f32 v5, v11, v1, v9
	v_fmac_f32_e32 v4, v0, v11
	v_fma_f32 v5, -v0, v8, v5
	ds_write_b64 v76, v[4:5] offset:4576
	v_fma_f32 v4, v10, 0.5, -v12
	v_fma_f32 v1, v11, v1, -v9
	v_fma_f32 v4, -v0, v11, v4
	v_fma_f32 v5, -v0, v8, v1
	ds_write_b64 v6, v[4:5] offset:6240
	ds_read_b64 v[0:1], v7
	ds_read_b64 v[4:5], v6 offset:5824
	s_waitcnt lgkmcnt(0)
	v_add_f32_e32 v8, v0, v4
	v_sub_f32_e32 v0, v0, v4
	v_add_f32_e32 v9, v1, v5
	v_sub_f32_e32 v1, v1, v5
	v_mul_f32_e32 v4, 0.5, v0
	v_mul_f32_e32 v9, 0.5, v9
	;; [unrolled: 1-line block ×3, first 2 shown]
	s_waitcnt vmcnt(0)
	v_mul_f32_e32 v10, v3, v4
	v_fma_f32 v0, 0.5, v8, v10
	v_fma_f32 v1, v9, v3, v5
	v_fmac_f32_e32 v0, v2, v9
	v_fma_f32 v1, -v2, v4, v1
	ds_write_b64 v7, v[0:1]
	v_fma_f32 v0, v8, 0.5, -v10
	v_fma_f32 v1, v9, v3, -v5
	v_fma_f32 v0, -v2, v9, v0
	v_fma_f32 v1, -v2, v4, v1
	ds_write_b64 v6, v[0:1] offset:5824
	s_waitcnt lgkmcnt(0)
	; wave barrier
	s_waitcnt lgkmcnt(0)
	s_and_saveexec_b64 s[2:3], s[0:1]
	s_cbranch_execz .LBB0_24
; %bb.22:
	v_mul_lo_u32 v2, s5, v42
	v_mul_lo_u32 v3, s4, v43
	v_mad_u64_u32 v[0:1], s[0:1], s4, v42, 0
	v_mov_b32_e32 v6, s11
	v_lshl_add_u32 v8, v38, 3, 0
	v_add3_u32 v1, v1, v3, v2
	v_lshlrev_b64 v[0:1], 3, v[0:1]
	v_mov_b32_e32 v39, v41
	v_add_co_u32_e32 v0, vcc, s10, v0
	v_addc_co_u32_e32 v9, vcc, v6, v1, vcc
	v_lshlrev_b64 v[6:7], 3, v[36:37]
	ds_read2_b64 v[2:5], v8 offset1:52
	v_add_co_u32_e32 v1, vcc, v0, v6
	v_addc_co_u32_e32 v0, vcc, v9, v7, vcc
	v_lshlrev_b64 v[6:7], 3, v[38:39]
	v_add_u32_e32 v40, 52, v38
	v_add_co_u32_e32 v6, vcc, v1, v6
	v_addc_co_u32_e32 v7, vcc, v0, v7, vcc
	s_waitcnt lgkmcnt(0)
	global_store_dwordx2 v[6:7], v[2:3], off
	v_lshlrev_b64 v[2:3], 3, v[40:41]
	v_add_u32_e32 v40, 0x68, v38
	v_add_co_u32_e32 v2, vcc, v1, v2
	v_addc_co_u32_e32 v3, vcc, v0, v3, vcc
	global_store_dwordx2 v[2:3], v[4:5], off
	ds_read2_b64 v[2:5], v8 offset0:104 offset1:156
	v_lshlrev_b64 v[6:7], 3, v[40:41]
	v_add_u32_e32 v40, 0x9c, v38
	v_add_co_u32_e32 v6, vcc, v1, v6
	v_addc_co_u32_e32 v7, vcc, v0, v7, vcc
	s_waitcnt lgkmcnt(0)
	global_store_dwordx2 v[6:7], v[2:3], off
	v_lshlrev_b64 v[2:3], 3, v[40:41]
	v_add_u32_e32 v40, 0xd0, v38
	v_add_co_u32_e32 v2, vcc, v1, v2
	v_addc_co_u32_e32 v3, vcc, v0, v3, vcc
	global_store_dwordx2 v[2:3], v[4:5], off
	v_add_u32_e32 v2, 0x400, v8
	ds_read2_b64 v[2:5], v2 offset0:80 offset1:132
	v_lshlrev_b64 v[6:7], 3, v[40:41]
	v_add_u32_e32 v40, 0x104, v38
	v_add_co_u32_e32 v6, vcc, v1, v6
	v_addc_co_u32_e32 v7, vcc, v0, v7, vcc
	s_waitcnt lgkmcnt(0)
	global_store_dwordx2 v[6:7], v[2:3], off
	v_lshlrev_b64 v[2:3], 3, v[40:41]
	v_add_u32_e32 v9, 0x800, v8
	v_add_co_u32_e32 v2, vcc, v1, v2
	v_addc_co_u32_e32 v3, vcc, v0, v3, vcc
	global_store_dwordx2 v[2:3], v[4:5], off
	v_add_u32_e32 v40, 0x138, v38
	ds_read2_b64 v[2:5], v9 offset0:56 offset1:108
	v_lshlrev_b64 v[6:7], 3, v[40:41]
	v_add_u32_e32 v40, 0x16c, v38
	v_add_co_u32_e32 v6, vcc, v1, v6
	v_addc_co_u32_e32 v7, vcc, v0, v7, vcc
	s_waitcnt lgkmcnt(0)
	global_store_dwordx2 v[6:7], v[2:3], off
	v_lshlrev_b64 v[2:3], 3, v[40:41]
	v_add_u32_e32 v40, 0x1a0, v38
	v_add_co_u32_e32 v2, vcc, v1, v2
	v_addc_co_u32_e32 v3, vcc, v0, v3, vcc
	global_store_dwordx2 v[2:3], v[4:5], off
	ds_read2_b64 v[2:5], v9 offset0:160 offset1:212
	v_lshlrev_b64 v[6:7], 3, v[40:41]
	v_add_u32_e32 v40, 0x1d4, v38
	v_add_co_u32_e32 v6, vcc, v1, v6
	v_addc_co_u32_e32 v7, vcc, v0, v7, vcc
	s_waitcnt lgkmcnt(0)
	global_store_dwordx2 v[6:7], v[2:3], off
	v_lshlrev_b64 v[2:3], 3, v[40:41]
	v_add_u32_e32 v9, 0x1000, v8
	v_add_co_u32_e32 v2, vcc, v1, v2
	v_addc_co_u32_e32 v3, vcc, v0, v3, vcc
	global_store_dwordx2 v[2:3], v[4:5], off
	v_add_u32_e32 v40, 0x208, v38
	ds_read2_b64 v[2:5], v9 offset0:8 offset1:60
	v_lshlrev_b64 v[6:7], 3, v[40:41]
	v_add_u32_e32 v40, 0x23c, v38
	v_add_co_u32_e32 v6, vcc, v1, v6
	v_addc_co_u32_e32 v7, vcc, v0, v7, vcc
	s_waitcnt lgkmcnt(0)
	global_store_dwordx2 v[6:7], v[2:3], off
	v_lshlrev_b64 v[2:3], 3, v[40:41]
	v_add_u32_e32 v40, 0x270, v38
	v_add_co_u32_e32 v2, vcc, v1, v2
	v_addc_co_u32_e32 v3, vcc, v0, v3, vcc
	global_store_dwordx2 v[2:3], v[4:5], off
	ds_read2_b64 v[2:5], v9 offset0:112 offset1:164
	v_lshlrev_b64 v[6:7], 3, v[40:41]
	v_add_u32_e32 v40, 0x2a4, v38
	v_add_co_u32_e32 v6, vcc, v1, v6
	v_addc_co_u32_e32 v7, vcc, v0, v7, vcc
	s_waitcnt lgkmcnt(0)
	global_store_dwordx2 v[6:7], v[2:3], off
	v_lshlrev_b64 v[2:3], 3, v[40:41]
	v_add_u32_e32 v40, 0x2d8, v38
	v_add_co_u32_e32 v2, vcc, v1, v2
	v_addc_co_u32_e32 v3, vcc, v0, v3, vcc
	global_store_dwordx2 v[2:3], v[4:5], off
	v_add_u32_e32 v2, 0x1400, v8
	ds_read2_b64 v[2:5], v2 offset0:88 offset1:140
	v_lshlrev_b64 v[6:7], 3, v[40:41]
	v_add_u32_e32 v40, 0x30c, v38
	v_add_co_u32_e32 v6, vcc, v1, v6
	v_addc_co_u32_e32 v7, vcc, v0, v7, vcc
	s_waitcnt lgkmcnt(0)
	global_store_dwordx2 v[6:7], v[2:3], off
	v_lshlrev_b64 v[2:3], 3, v[40:41]
	v_add_u32_e32 v9, 0x1800, v8
	v_add_co_u32_e32 v2, vcc, v1, v2
	v_addc_co_u32_e32 v3, vcc, v0, v3, vcc
	global_store_dwordx2 v[2:3], v[4:5], off
	v_add_u32_e32 v40, 0x340, v38
	ds_read2_b64 v[2:5], v9 offset0:64 offset1:116
	v_lshlrev_b64 v[6:7], 3, v[40:41]
	v_add_u32_e32 v40, 0x374, v38
	v_add_co_u32_e32 v6, vcc, v1, v6
	v_addc_co_u32_e32 v7, vcc, v0, v7, vcc
	s_waitcnt lgkmcnt(0)
	global_store_dwordx2 v[6:7], v[2:3], off
	v_lshlrev_b64 v[2:3], 3, v[40:41]
	v_add_u32_e32 v40, 0x3a8, v38
	v_add_co_u32_e32 v2, vcc, v1, v2
	v_addc_co_u32_e32 v3, vcc, v0, v3, vcc
	global_store_dwordx2 v[2:3], v[4:5], off
	ds_read2_b64 v[2:5], v9 offset0:168 offset1:220
	v_lshlrev_b64 v[6:7], 3, v[40:41]
	v_add_u32_e32 v40, 0x3dc, v38
	v_add_co_u32_e32 v6, vcc, v1, v6
	v_addc_co_u32_e32 v7, vcc, v0, v7, vcc
	s_waitcnt lgkmcnt(0)
	global_store_dwordx2 v[6:7], v[2:3], off
	v_lshlrev_b64 v[2:3], 3, v[40:41]
	v_add_u32_e32 v9, 0x2000, v8
	v_add_co_u32_e32 v2, vcc, v1, v2
	v_addc_co_u32_e32 v3, vcc, v0, v3, vcc
	global_store_dwordx2 v[2:3], v[4:5], off
	v_add_u32_e32 v40, 0x410, v38
	ds_read2_b64 v[2:5], v9 offset0:16 offset1:68
	v_lshlrev_b64 v[6:7], 3, v[40:41]
	v_add_u32_e32 v40, 0x444, v38
	v_add_co_u32_e32 v6, vcc, v1, v6
	v_addc_co_u32_e32 v7, vcc, v0, v7, vcc
	s_waitcnt lgkmcnt(0)
	global_store_dwordx2 v[6:7], v[2:3], off
	v_lshlrev_b64 v[2:3], 3, v[40:41]
	v_add_u32_e32 v40, 0x478, v38
	v_add_co_u32_e32 v2, vcc, v1, v2
	v_addc_co_u32_e32 v3, vcc, v0, v3, vcc
	global_store_dwordx2 v[2:3], v[4:5], off
	ds_read2_b64 v[2:5], v9 offset0:120 offset1:172
	v_lshlrev_b64 v[6:7], 3, v[40:41]
	v_add_u32_e32 v40, 0x4ac, v38
	v_add_co_u32_e32 v6, vcc, v1, v6
	v_addc_co_u32_e32 v7, vcc, v0, v7, vcc
	s_waitcnt lgkmcnt(0)
	global_store_dwordx2 v[6:7], v[2:3], off
	v_lshlrev_b64 v[2:3], 3, v[40:41]
	v_add_u32_e32 v40, 0x4e0, v38
	v_add_co_u32_e32 v2, vcc, v1, v2
	v_addc_co_u32_e32 v3, vcc, v0, v3, vcc
	global_store_dwordx2 v[2:3], v[4:5], off
	v_add_u32_e32 v2, 0x2400, v8
	ds_read2_b64 v[2:5], v2 offset0:96 offset1:148
	v_lshlrev_b64 v[6:7], 3, v[40:41]
	v_add_u32_e32 v40, 0x514, v38
	v_add_co_u32_e32 v6, vcc, v1, v6
	v_addc_co_u32_e32 v7, vcc, v0, v7, vcc
	s_waitcnt lgkmcnt(0)
	global_store_dwordx2 v[6:7], v[2:3], off
	v_lshlrev_b64 v[2:3], 3, v[40:41]
	v_add_co_u32_e32 v2, vcc, v1, v2
	v_addc_co_u32_e32 v3, vcc, v0, v3, vcc
	v_cmp_eq_u32_e32 vcc, 51, v38
	global_store_dwordx2 v[2:3], v[4:5], off
	s_and_b64 exec, exec, vcc
	s_cbranch_execz .LBB0_24
; %bb.23:
	v_mov_b32_e32 v2, 0
	ds_read_b64 v[2:3], v2 offset:10816
	v_add_co_u32_e32 v4, vcc, 0x2000, v1
	v_addc_co_u32_e32 v5, vcc, 0, v0, vcc
	s_waitcnt lgkmcnt(0)
	global_store_dwordx2 v[4:5], v[2:3], off offset:2624
.LBB0_24:
	s_endpgm
	.section	.rodata,"a",@progbits
	.p2align	6, 0x0
	.amdhsa_kernel fft_rtc_fwd_len1352_factors_2_13_13_4_wgs_52_tpt_52_halfLds_sp_op_CI_CI_unitstride_sbrr_R2C_dirReg
		.amdhsa_group_segment_fixed_size 0
		.amdhsa_private_segment_fixed_size 0
		.amdhsa_kernarg_size 104
		.amdhsa_user_sgpr_count 6
		.amdhsa_user_sgpr_private_segment_buffer 1
		.amdhsa_user_sgpr_dispatch_ptr 0
		.amdhsa_user_sgpr_queue_ptr 0
		.amdhsa_user_sgpr_kernarg_segment_ptr 1
		.amdhsa_user_sgpr_dispatch_id 0
		.amdhsa_user_sgpr_flat_scratch_init 0
		.amdhsa_user_sgpr_private_segment_size 0
		.amdhsa_uses_dynamic_stack 0
		.amdhsa_system_sgpr_private_segment_wavefront_offset 0
		.amdhsa_system_sgpr_workgroup_id_x 1
		.amdhsa_system_sgpr_workgroup_id_y 0
		.amdhsa_system_sgpr_workgroup_id_z 0
		.amdhsa_system_sgpr_workgroup_info 0
		.amdhsa_system_vgpr_workitem_id 0
		.amdhsa_next_free_vgpr 135
		.amdhsa_next_free_sgpr 28
		.amdhsa_reserve_vcc 1
		.amdhsa_reserve_flat_scratch 0
		.amdhsa_float_round_mode_32 0
		.amdhsa_float_round_mode_16_64 0
		.amdhsa_float_denorm_mode_32 3
		.amdhsa_float_denorm_mode_16_64 3
		.amdhsa_dx10_clamp 1
		.amdhsa_ieee_mode 1
		.amdhsa_fp16_overflow 0
		.amdhsa_exception_fp_ieee_invalid_op 0
		.amdhsa_exception_fp_denorm_src 0
		.amdhsa_exception_fp_ieee_div_zero 0
		.amdhsa_exception_fp_ieee_overflow 0
		.amdhsa_exception_fp_ieee_underflow 0
		.amdhsa_exception_fp_ieee_inexact 0
		.amdhsa_exception_int_div_zero 0
	.end_amdhsa_kernel
	.text
.Lfunc_end0:
	.size	fft_rtc_fwd_len1352_factors_2_13_13_4_wgs_52_tpt_52_halfLds_sp_op_CI_CI_unitstride_sbrr_R2C_dirReg, .Lfunc_end0-fft_rtc_fwd_len1352_factors_2_13_13_4_wgs_52_tpt_52_halfLds_sp_op_CI_CI_unitstride_sbrr_R2C_dirReg
                                        ; -- End function
	.section	.AMDGPU.csdata,"",@progbits
; Kernel info:
; codeLenInByte = 20528
; NumSgprs: 32
; NumVgprs: 135
; ScratchSize: 0
; MemoryBound: 0
; FloatMode: 240
; IeeeMode: 1
; LDSByteSize: 0 bytes/workgroup (compile time only)
; SGPRBlocks: 3
; VGPRBlocks: 33
; NumSGPRsForWavesPerEU: 32
; NumVGPRsForWavesPerEU: 135
; Occupancy: 1
; WaveLimiterHint : 1
; COMPUTE_PGM_RSRC2:SCRATCH_EN: 0
; COMPUTE_PGM_RSRC2:USER_SGPR: 6
; COMPUTE_PGM_RSRC2:TRAP_HANDLER: 0
; COMPUTE_PGM_RSRC2:TGID_X_EN: 1
; COMPUTE_PGM_RSRC2:TGID_Y_EN: 0
; COMPUTE_PGM_RSRC2:TGID_Z_EN: 0
; COMPUTE_PGM_RSRC2:TIDIG_COMP_CNT: 0
	.type	__hip_cuid_2d546a4630200655,@object ; @__hip_cuid_2d546a4630200655
	.section	.bss,"aw",@nobits
	.globl	__hip_cuid_2d546a4630200655
__hip_cuid_2d546a4630200655:
	.byte	0                               ; 0x0
	.size	__hip_cuid_2d546a4630200655, 1

	.ident	"AMD clang version 19.0.0git (https://github.com/RadeonOpenCompute/llvm-project roc-6.4.0 25133 c7fe45cf4b819c5991fe208aaa96edf142730f1d)"
	.section	".note.GNU-stack","",@progbits
	.addrsig
	.addrsig_sym __hip_cuid_2d546a4630200655
	.amdgpu_metadata
---
amdhsa.kernels:
  - .args:
      - .actual_access:  read_only
        .address_space:  global
        .offset:         0
        .size:           8
        .value_kind:     global_buffer
      - .offset:         8
        .size:           8
        .value_kind:     by_value
      - .actual_access:  read_only
        .address_space:  global
        .offset:         16
        .size:           8
        .value_kind:     global_buffer
      - .actual_access:  read_only
        .address_space:  global
        .offset:         24
        .size:           8
        .value_kind:     global_buffer
      - .actual_access:  read_only
        .address_space:  global
        .offset:         32
        .size:           8
        .value_kind:     global_buffer
      - .offset:         40
        .size:           8
        .value_kind:     by_value
      - .actual_access:  read_only
        .address_space:  global
        .offset:         48
        .size:           8
        .value_kind:     global_buffer
      - .actual_access:  read_only
        .address_space:  global
        .offset:         56
        .size:           8
        .value_kind:     global_buffer
      - .offset:         64
        .size:           4
        .value_kind:     by_value
      - .actual_access:  read_only
        .address_space:  global
        .offset:         72
        .size:           8
        .value_kind:     global_buffer
      - .actual_access:  read_only
        .address_space:  global
        .offset:         80
        .size:           8
        .value_kind:     global_buffer
      - .actual_access:  read_only
        .address_space:  global
        .offset:         88
        .size:           8
        .value_kind:     global_buffer
      - .actual_access:  write_only
        .address_space:  global
        .offset:         96
        .size:           8
        .value_kind:     global_buffer
    .group_segment_fixed_size: 0
    .kernarg_segment_align: 8
    .kernarg_segment_size: 104
    .language:       OpenCL C
    .language_version:
      - 2
      - 0
    .max_flat_workgroup_size: 52
    .name:           fft_rtc_fwd_len1352_factors_2_13_13_4_wgs_52_tpt_52_halfLds_sp_op_CI_CI_unitstride_sbrr_R2C_dirReg
    .private_segment_fixed_size: 0
    .sgpr_count:     32
    .sgpr_spill_count: 0
    .symbol:         fft_rtc_fwd_len1352_factors_2_13_13_4_wgs_52_tpt_52_halfLds_sp_op_CI_CI_unitstride_sbrr_R2C_dirReg.kd
    .uniform_work_group_size: 1
    .uses_dynamic_stack: false
    .vgpr_count:     135
    .vgpr_spill_count: 0
    .wavefront_size: 64
amdhsa.target:   amdgcn-amd-amdhsa--gfx906
amdhsa.version:
  - 1
  - 2
...

	.end_amdgpu_metadata
